;; amdgpu-corpus repo=ROCm/rocFFT kind=compiled arch=gfx906 opt=O3
	.text
	.amdgcn_target "amdgcn-amd-amdhsa--gfx906"
	.amdhsa_code_object_version 6
	.protected	bluestein_single_fwd_len182_dim1_sp_op_CI_CI ; -- Begin function bluestein_single_fwd_len182_dim1_sp_op_CI_CI
	.globl	bluestein_single_fwd_len182_dim1_sp_op_CI_CI
	.p2align	8
	.type	bluestein_single_fwd_len182_dim1_sp_op_CI_CI,@function
bluestein_single_fwd_len182_dim1_sp_op_CI_CI: ; @bluestein_single_fwd_len182_dim1_sp_op_CI_CI
; %bb.0:
	s_load_dwordx4 s[8:11], s[4:5], 0x28
	v_mul_u32_u24_e32 v1, 0x13b2, v0
	v_lshrrev_b32_e32 v2, 16, v1
	v_lshl_add_u32 v84, s6, 2, v2
	v_mov_b32_e32 v85, 0
	s_waitcnt lgkmcnt(0)
	v_cmp_gt_u64_e32 vcc, s[8:9], v[84:85]
	s_and_saveexec_b64 s[0:1], vcc
	s_cbranch_execz .LBB0_15
; %bb.1:
	s_load_dwordx4 s[12:15], s[4:5], 0x18
	v_mul_lo_u16_e32 v1, 13, v2
	v_sub_u16_e32 v118, v0, v1
	v_lshlrev_b32_e32 v66, 3, v118
	v_or_b32_e32 v116, 0x70, v118
	s_waitcnt lgkmcnt(0)
	s_load_dwordx4 s[0:3], s[12:13], 0x0
	s_waitcnt lgkmcnt(0)
	v_mad_u64_u32 v[0:1], s[6:7], s2, v84, 0
	v_mad_u64_u32 v[3:4], s[6:7], s0, v118, 0
	;; [unrolled: 1-line block ×3, first 2 shown]
	s_mul_i32 s6, s1, 0x70
	s_mul_hi_u32 s7, s0, 0x70
	v_mad_u64_u32 v[6:7], s[2:3], s1, v118, v[4:5]
	v_mov_b32_e32 v1, v5
	v_lshlrev_b64 v[0:1], 3, v[0:1]
	v_mov_b32_e32 v4, v6
	v_mov_b32_e32 v7, s11
	v_add_co_u32_e32 v0, vcc, s10, v0
	v_lshlrev_b64 v[3:4], 3, v[3:4]
	v_addc_co_u32_e32 v1, vcc, v7, v1, vcc
	v_add_co_u32_e32 v3, vcc, v0, v3
	v_addc_co_u32_e32 v4, vcc, v1, v4, vcc
	s_add_i32 s6, s7, s6
	s_mul_i32 s7, s0, 0x70
	v_mov_b32_e32 v6, s6
	v_add_co_u32_e32 v5, vcc, s7, v3
	v_addc_co_u32_e32 v6, vcc, v4, v6, vcc
	v_mov_b32_e32 v8, s6
	v_add_co_u32_e32 v7, vcc, s7, v5
	v_addc_co_u32_e32 v8, vcc, v6, v8, vcc
	v_mov_b32_e32 v10, s6
	v_add_co_u32_e32 v9, vcc, s7, v7
	s_load_dwordx2 s[2:3], s[4:5], 0x0
	v_addc_co_u32_e32 v10, vcc, v8, v10, vcc
	global_load_dwordx2 v[11:12], v[3:4], off
	global_load_dwordx2 v[13:14], v[5:6], off
	;; [unrolled: 1-line block ×4, first 2 shown]
	s_waitcnt lgkmcnt(0)
	global_load_dwordx2 v[97:98], v66, s[2:3]
	global_load_dwordx2 v[95:96], v66, s[2:3] offset:112
	global_load_dwordx2 v[91:92], v66, s[2:3] offset:224
	;; [unrolled: 1-line block ×3, first 2 shown]
	v_mov_b32_e32 v4, s6
	v_add_co_u32_e32 v3, vcc, s7, v9
	v_addc_co_u32_e32 v4, vcc, v10, v4, vcc
	global_load_dwordx2 v[7:8], v[3:4], off
	v_mov_b32_e32 v5, s6
	v_add_co_u32_e32 v3, vcc, s7, v3
	v_addc_co_u32_e32 v4, vcc, v4, v5, vcc
	global_load_dwordx2 v[9:10], v[3:4], off
	v_add_co_u32_e32 v3, vcc, s7, v3
	v_addc_co_u32_e32 v4, vcc, v4, v5, vcc
	v_mad_u64_u32 v[5:6], s[8:9], s0, v116, 0
	global_load_dwordx2 v[19:20], v[3:4], off
	v_mov_b32_e32 v21, s6
	v_add_co_u32_e32 v3, vcc, s7, v3
	v_addc_co_u32_e32 v4, vcc, v4, v21, vcc
	global_load_dwordx2 v[21:22], v[3:4], off
	global_load_dwordx2 v[93:94], v66, s[2:3] offset:448
	global_load_dwordx2 v[89:90], v66, s[2:3] offset:560
	;; [unrolled: 1-line block ×4, first 2 shown]
	v_and_b32_e32 v2, 3, v2
	v_mul_u32_u24_e32 v67, 0xb6, v2
	v_lshlrev_b32_e32 v115, 3, v67
	v_add_u32_e32 v117, v115, v66
	s_waitcnt vmcnt(11)
	v_mul_f32_e32 v2, v12, v98
	v_fmac_f32_e32 v2, v11, v97
	s_waitcnt vmcnt(7)
	v_mad_u64_u32 v[23:24], s[8:9], s1, v116, v[6:7]
	v_mov_b32_e32 v6, v23
	v_mov_b32_e32 v23, 0xe0
	v_mad_u64_u32 v[3:4], s[8:9], s0, v23, v[3:4]
	v_lshlrev_b64 v[5:6], 3, v[5:6]
	s_mul_i32 s8, s1, 0xe0
	v_add_co_u32_e32 v5, vcc, v0, v5
	v_addc_co_u32_e32 v6, vcc, v1, v6, vcc
	v_add_u32_e32 v4, s8, v4
	global_load_dwordx2 v[23:24], v[5:6], off
	global_load_dwordx2 v[25:26], v[3:4], off
	global_load_dwordx2 v[82:83], v66, s[2:3] offset:896
	global_load_dwordx2 v[76:77], v66, s[2:3] offset:1008
	v_mov_b32_e32 v5, s6
	v_add_co_u32_e32 v3, vcc, s7, v3
	v_addc_co_u32_e32 v4, vcc, v4, v5, vcc
	global_load_dwordx2 v[27:28], v[3:4], off
	v_add_co_u32_e32 v3, vcc, s7, v3
	v_addc_co_u32_e32 v4, vcc, v4, v5, vcc
	global_load_dwordx2 v[78:79], v66, s[2:3] offset:1120
	global_load_dwordx2 v[29:30], v[3:4], off
	global_load_dwordx2 v[74:75], v66, s[2:3] offset:1232
	v_add_co_u32_e32 v3, vcc, s7, v3
	v_addc_co_u32_e32 v4, vcc, v4, v5, vcc
	global_load_dwordx2 v[31:32], v[3:4], off
	global_load_dwordx2 v[72:73], v66, s[2:3] offset:1344
	v_mul_f32_e32 v3, v11, v98
	v_mul_f32_e32 v4, v14, v96
	;; [unrolled: 1-line block ×3, first 2 shown]
	v_fma_f32 v3, v12, v97, -v3
	v_fmac_f32_e32 v4, v13, v95
	v_fma_f32 v5, v14, v95, -v5
	s_load_dwordx2 s[6:7], s[4:5], 0x38
	s_load_dwordx4 s[8:11], s[14:15], 0x0
	ds_write2_b64 v117, v[2:3], v[4:5] offset1:14
	v_mul_f32_e32 v2, v16, v92
	v_mul_f32_e32 v3, v15, v92
	;; [unrolled: 1-line block ×4, first 2 shown]
	v_fmac_f32_e32 v2, v15, v91
	v_fma_f32 v3, v16, v91, -v3
	v_fmac_f32_e32 v4, v17, v85
	v_fma_f32 v5, v18, v85, -v5
	ds_write2_b64 v117, v[2:3], v[4:5] offset0:28 offset1:42
	s_waitcnt vmcnt(13)
	v_mul_f32_e32 v2, v8, v94
	v_mul_f32_e32 v3, v7, v94
	s_waitcnt vmcnt(12)
	v_mul_f32_e32 v4, v10, v90
	v_mul_f32_e32 v5, v9, v90
	v_fmac_f32_e32 v2, v7, v93
	v_fma_f32 v3, v8, v93, -v3
	v_fmac_f32_e32 v4, v9, v89
	v_fma_f32 v5, v10, v89, -v5
	ds_write2_b64 v117, v[2:3], v[4:5] offset0:56 offset1:70
	s_waitcnt vmcnt(11)
	v_mul_f32_e32 v2, v20, v88
	v_mul_f32_e32 v3, v19, v88
	s_waitcnt vmcnt(10)
	v_mul_f32_e32 v4, v22, v81
	v_mul_f32_e32 v5, v21, v81
	v_fmac_f32_e32 v2, v19, v87
	v_fma_f32 v3, v20, v87, -v3
	v_fmac_f32_e32 v4, v21, v80
	v_fma_f32 v5, v22, v80, -v5
	ds_write2_b64 v117, v[2:3], v[4:5] offset0:84 offset1:98
	v_mov_b32_e32 v6, s3
	v_cmp_eq_u16_e32 vcc, 0, v118
	s_waitcnt vmcnt(7)
	v_mul_f32_e32 v2, v24, v83
	v_mul_f32_e32 v3, v23, v83
	s_waitcnt vmcnt(6)
	v_mul_f32_e32 v4, v26, v77
	v_mul_f32_e32 v5, v25, v77
	v_fmac_f32_e32 v2, v23, v82
	v_fma_f32 v3, v24, v82, -v3
	v_fmac_f32_e32 v4, v25, v76
	v_fma_f32 v5, v26, v76, -v5
	ds_write2_b64 v117, v[2:3], v[4:5] offset0:112 offset1:126
	s_waitcnt vmcnt(4)
	v_mul_f32_e32 v2, v28, v79
	v_mul_f32_e32 v3, v27, v79
	s_waitcnt vmcnt(2)
	v_mul_f32_e32 v4, v30, v75
	v_mul_f32_e32 v5, v29, v75
	v_fmac_f32_e32 v2, v27, v78
	v_fma_f32 v3, v28, v78, -v3
	v_fmac_f32_e32 v4, v29, v74
	v_fma_f32 v5, v30, v74, -v5
	ds_write2_b64 v117, v[2:3], v[4:5] offset0:140 offset1:154
	s_waitcnt vmcnt(0)
	v_mul_f32_e32 v2, v32, v73
	v_mul_f32_e32 v3, v31, v73
	v_fmac_f32_e32 v2, v31, v72
	v_fma_f32 v3, v32, v72, -v3
	ds_write_b64 v117, v[2:3] offset:1344
	s_and_saveexec_b64 s[12:13], vcc
	s_cbranch_execz .LBB0_3
; %bb.2:
	v_mov_b32_e32 v4, 0xd8
	v_mad_u64_u32 v[4:5], s[14:15], s0, v4, v[0:1]
	v_mov_b32_e32 v2, 0x68
	v_mad_u64_u32 v[2:3], s[14:15], s0, v2, v[0:1]
	s_mul_i32 s14, s1, 0xd8
	v_mov_b32_e32 v9, 0x1b8
	v_add_u32_e32 v5, s14, v5
	v_mad_u64_u32 v[9:10], s[14:15], s0, v9, v[0:1]
	v_mov_b32_e32 v7, 0x148
	v_mad_u64_u32 v[7:8], s[14:15], s0, v7, v[0:1]
	s_mul_i32 s16, s1, 0x68
	s_mul_i32 s14, s1, 0x1b8
	v_mov_b32_e32 v13, 0x298
	v_add_u32_e32 v3, s16, v3
	v_add_u32_e32 v10, s14, v10
	v_mad_u64_u32 v[13:14], s[14:15], s0, v13, v[0:1]
	global_load_dwordx2 v[2:3], v[2:3], off
	s_mul_i32 s16, s1, 0x148
	global_load_dwordx2 v[4:5], v[4:5], off
	v_mov_b32_e32 v11, 0x228
	v_add_u32_e32 v8, s16, v8
	global_load_dwordx2 v[7:8], v[7:8], off
	v_mad_u64_u32 v[11:12], s[14:15], s0, v11, v[0:1]
	global_load_dwordx2 v[9:10], v[9:10], off
	s_mul_i32 s14, s1, 0x298
	v_mov_b32_e32 v17, 0x378
	v_add_u32_e32 v14, s14, v14
	v_mad_u64_u32 v[17:18], s[14:15], s0, v17, v[0:1]
	v_mov_b32_e32 v15, 0x308
	v_mad_u64_u32 v[15:16], s[14:15], s0, v15, v[0:1]
	s_mul_i32 s16, s1, 0x228
	s_mul_i32 s14, s1, 0x378
	v_mov_b32_e32 v21, 0x458
	v_add_u32_e32 v12, s16, v12
	global_load_dwordx2 v[11:12], v[11:12], off
	v_add_u32_e32 v18, s14, v18
	global_load_dwordx2 v[13:14], v[13:14], off
	v_mad_u64_u32 v[21:22], s[14:15], s0, v21, v[0:1]
	s_mul_i32 s16, s1, 0x308
	v_mov_b32_e32 v19, 0x3e8
	v_add_u32_e32 v16, s16, v16
	global_load_dwordx2 v[15:16], v[15:16], off
	v_mad_u64_u32 v[19:20], s[14:15], s0, v19, v[0:1]
	global_load_dwordx2 v[17:18], v[17:18], off
	s_mul_i32 s14, s1, 0x458
	v_mov_b32_e32 v25, 0x538
	v_add_u32_e32 v22, s14, v22
	v_mad_u64_u32 v[25:26], s[14:15], s0, v25, v[0:1]
	s_mul_i32 s16, s1, 0x3e8
	v_mov_b32_e32 v23, 0x4c8
	v_add_u32_e32 v20, s16, v20
	global_load_dwordx2 v[19:20], v[19:20], off
	v_mad_u64_u32 v[23:24], s[14:15], s0, v23, v[0:1]
	global_load_dwordx2 v[21:22], v[21:22], off
	s_mul_i32 s14, s1, 0x538
	v_mov_b32_e32 v27, 0x5a8
	v_add_u32_e32 v26, s14, v26
	v_mad_u64_u32 v[0:1], s[14:15], s0, v27, v[0:1]
	s_mul_i32 s16, s1, 0x4c8
	v_add_u32_e32 v24, s16, v24
	global_load_dwordx2 v[23:24], v[23:24], off
	s_mul_i32 s0, s1, 0x5a8
	global_load_dwordx2 v[25:26], v[25:26], off
	v_add_u32_e32 v1, s0, v1
	global_load_dwordx2 v[0:1], v[0:1], off
	s_load_dwordx2 s[0:1], s[2:3], 0x68
	s_load_dwordx2 s[14:15], s[2:3], 0xd8
	;; [unrolled: 1-line block ×4, first 2 shown]
	s_waitcnt vmcnt(12) lgkmcnt(0)
	v_mul_f32_e32 v27, s1, v3
	v_mul_f32_e32 v28, s1, v2
	s_waitcnt vmcnt(11)
	v_mul_f32_e32 v29, s15, v5
	v_fmac_f32_e32 v27, s0, v2
	v_mul_f32_e32 v2, s15, v4
	v_fma_f32 v28, v3, s0, -v28
	v_fmac_f32_e32 v29, s14, v4
	v_fma_f32 v30, v5, s14, -v2
	s_waitcnt vmcnt(10)
	v_mul_f32_e32 v2, s17, v8
	v_mul_f32_e32 v3, s17, v7
	s_waitcnt vmcnt(9)
	v_mul_f32_e32 v4, s19, v10
	v_mul_f32_e32 v5, s19, v9
	v_fmac_f32_e32 v2, s16, v7
	v_fma_f32 v3, v8, s16, -v3
	v_fmac_f32_e32 v4, s18, v9
	v_fma_f32 v5, v10, s18, -v5
	s_load_dwordx2 s[0:1], s[2:3], 0x228
	ds_write2_b64 v115, v[27:28], v[29:30] offset0:13 offset1:27
	ds_write2_b64 v115, v[2:3], v[4:5] offset0:41 offset1:55
	s_load_dwordx2 s[14:15], s[2:3], 0x298
	s_load_dwordx2 s[16:17], s[2:3], 0x308
	;; [unrolled: 1-line block ×3, first 2 shown]
	s_waitcnt vmcnt(8) lgkmcnt(0)
	v_mul_f32_e32 v2, s1, v12
	v_mul_f32_e32 v3, s1, v11
	s_waitcnt vmcnt(7)
	v_mul_f32_e32 v4, s15, v14
	v_mul_f32_e32 v5, s15, v13
	v_fmac_f32_e32 v2, s0, v11
	v_fma_f32 v3, v12, s0, -v3
	v_fmac_f32_e32 v4, s14, v13
	v_fma_f32 v5, v14, s14, -v5
	s_load_dwordx2 s[0:1], s[2:3], 0x3e8
	ds_write2_b64 v115, v[2:3], v[4:5] offset0:69 offset1:83
	s_waitcnt vmcnt(6)
	v_mul_f32_e32 v2, s17, v16
	v_mul_f32_e32 v3, s17, v15
	s_waitcnt vmcnt(5)
	v_mul_f32_e32 v4, s19, v18
	v_mul_f32_e32 v5, s19, v17
	v_fmac_f32_e32 v2, s16, v15
	v_fma_f32 v3, v16, s16, -v3
	v_fmac_f32_e32 v4, s18, v17
	v_fma_f32 v5, v18, s18, -v5
	ds_write2_b64 v115, v[2:3], v[4:5] offset0:97 offset1:111
	s_load_dwordx2 s[14:15], s[2:3], 0x458
	s_load_dwordx2 s[16:17], s[2:3], 0x4c8
	;; [unrolled: 1-line block ×3, first 2 shown]
	s_waitcnt vmcnt(4) lgkmcnt(0)
	v_mul_f32_e32 v2, s1, v20
	v_mul_f32_e32 v3, s1, v19
	v_fmac_f32_e32 v2, s0, v19
	v_fma_f32 v3, v20, s0, -v3
	s_load_dwordx2 s[0:1], s[2:3], 0x5a8
	s_waitcnt vmcnt(3)
	v_mul_f32_e32 v4, s15, v22
	v_mul_f32_e32 v5, s15, v21
	v_fmac_f32_e32 v4, s14, v21
	v_fma_f32 v5, v22, s14, -v5
	ds_write2_b64 v115, v[2:3], v[4:5] offset0:125 offset1:139
	s_waitcnt vmcnt(2)
	v_mul_f32_e32 v2, s17, v24
	v_mul_f32_e32 v3, s17, v23
	s_waitcnt vmcnt(1)
	v_mul_f32_e32 v4, s19, v26
	v_mul_f32_e32 v5, s19, v25
	v_fmac_f32_e32 v2, s16, v23
	v_fma_f32 v3, v24, s16, -v3
	v_fmac_f32_e32 v4, s18, v25
	v_fma_f32 v5, v26, s18, -v5
	ds_write2_b64 v115, v[2:3], v[4:5] offset0:153 offset1:167
	s_waitcnt vmcnt(0) lgkmcnt(0)
	v_mul_f32_e32 v2, s1, v1
	v_fmac_f32_e32 v2, s0, v0
	v_mul_f32_e32 v0, s1, v0
	v_fma_f32 v3, v1, s0, -v0
	ds_write_b64 v115, v[2:3] offset:1448
.LBB0_3:
	s_or_b64 exec, exec, s[12:13]
	s_waitcnt lgkmcnt(0)
	; wave barrier
	s_waitcnt lgkmcnt(0)
	ds_read2_b64 v[44:47], v117 offset1:14
	ds_read2_b64 v[36:39], v117 offset0:28 offset1:42
	ds_read2_b64 v[12:15], v117 offset0:56 offset1:70
	;; [unrolled: 1-line block ×5, first 2 shown]
	ds_read_b64 v[54:55], v117 offset:1344
	s_load_dwordx2 s[4:5], s[4:5], 0x8
	v_mov_b32_e32 v4, 0
	v_add_co_u32_e64 v48, s[0:1], s2, v66
	v_mov_b32_e32 v5, 0
	v_addc_co_u32_e64 v49, s[0:1], 0, v6, s[0:1]
                                        ; implicit-def: $vgpr10
                                        ; implicit-def: $vgpr16
                                        ; implicit-def: $vgpr28
                                        ; implicit-def: $vgpr50
                                        ; implicit-def: $vgpr26
                                        ; implicit-def: $vgpr22
	s_and_saveexec_b64 s[0:1], vcc
	s_cbranch_execz .LBB0_5
; %bb.4:
	ds_read2_b64 v[4:7], v115 offset0:13 offset1:27
	ds_read2_b64 v[20:23], v115 offset0:41 offset1:55
	;; [unrolled: 1-line block ×6, first 2 shown]
	ds_read_b64 v[50:51], v115 offset:1448
.LBB0_5:
	s_or_b64 exec, exec, s[0:1]
	s_waitcnt lgkmcnt(0)
	v_add_f32_e32 v52, v44, v46
	v_add_f32_e32 v53, v45, v47
	v_add_f32_e32 v52, v52, v36
	v_add_f32_e32 v53, v53, v37
	v_add_f32_e32 v52, v52, v38
	v_add_f32_e32 v53, v53, v39
	v_add_f32_e32 v52, v52, v12
	v_add_f32_e32 v53, v53, v13
	v_add_f32_e32 v52, v52, v14
	v_add_f32_e32 v53, v53, v15
	v_add_f32_e32 v52, v52, v0
	v_add_f32_e32 v53, v53, v1
	v_add_f32_e32 v52, v52, v2
	v_add_f32_e32 v53, v53, v3
	v_add_f32_e32 v52, v52, v32
	v_add_f32_e32 v53, v53, v33
	v_add_f32_e32 v52, v52, v34
	v_add_f32_e32 v53, v53, v35
	v_add_f32_e32 v52, v52, v40
	v_add_f32_e32 v53, v53, v41
	v_add_f32_e32 v52, v52, v42
	v_add_f32_e32 v56, v54, v46
	v_add_f32_e32 v57, v55, v47
	v_sub_f32_e32 v46, v46, v54
	v_sub_f32_e32 v47, v47, v55
	v_add_f32_e32 v53, v53, v43
	v_add_f32_e32 v52, v52, v54
	v_mul_f32_e32 v54, 0xbeedf032, v47
	s_mov_b32 s12, 0x3f62ad3f
	v_mul_f32_e32 v58, 0xbeedf032, v46
	v_mul_f32_e32 v60, 0xbf52af12, v47
	s_mov_b32 s1, 0x3f116cb1
	v_mul_f32_e32 v62, 0xbf52af12, v46
	;; [unrolled: 3-line block ×6, first 2 shown]
	v_add_f32_e32 v53, v53, v55
	v_fma_f32 v55, v56, s12, -v54
	v_mov_b32_e32 v59, v58
	v_fmac_f32_e32 v54, 0x3f62ad3f, v56
	v_fma_f32 v61, v56, s1, -v60
	v_mov_b32_e32 v63, v62
	v_fmac_f32_e32 v60, 0x3f116cb1, v56
	;; [unrolled: 3-line block ×6, first 2 shown]
	v_add_f32_e32 v55, v44, v55
	v_fmac_f32_e32 v59, 0x3f62ad3f, v57
	v_add_f32_e32 v54, v44, v54
	v_fma_f32 v58, v57, s12, -v58
	v_add_f32_e32 v61, v44, v61
	v_fmac_f32_e32 v63, 0x3f116cb1, v57
	v_add_f32_e32 v60, v44, v60
	v_fma_f32 v62, v57, s1, -v62
	;; [unrolled: 4-line block ×6, first 2 shown]
	v_add_f32_e32 v47, v43, v37
	v_sub_f32_e32 v37, v37, v43
	v_add_f32_e32 v59, v45, v59
	v_add_f32_e32 v58, v45, v58
	;; [unrolled: 1-line block ×13, first 2 shown]
	v_sub_f32_e32 v36, v36, v42
	v_mul_f32_e32 v42, 0xbf52af12, v37
	v_fma_f32 v43, v46, s1, -v42
	v_add_f32_e32 v43, v43, v55
	v_mul_f32_e32 v55, 0xbf52af12, v36
	v_fmac_f32_e32 v42, 0x3f116cb1, v46
	v_mov_b32_e32 v56, v55
	v_add_f32_e32 v42, v42, v54
	v_fma_f32 v54, v47, s1, -v55
	v_mul_f32_e32 v55, 0xbf6f5d39, v37
	v_fmac_f32_e32 v56, 0x3f116cb1, v47
	v_add_f32_e32 v54, v54, v58
	v_fma_f32 v57, v46, s13, -v55
	v_mul_f32_e32 v58, 0xbf6f5d39, v36
	v_fmac_f32_e32 v55, 0xbeb58ec6, v46
	v_add_f32_e32 v56, v56, v59
	v_mov_b32_e32 v59, v58
	v_add_f32_e32 v55, v55, v60
	v_fma_f32 v58, v47, s13, -v58
	v_mul_f32_e32 v60, 0xbe750f2a, v37
	v_add_f32_e32 v57, v57, v61
	v_fmac_f32_e32 v59, 0xbeb58ec6, v47
	v_add_f32_e32 v58, v58, v62
	v_fma_f32 v61, v46, s15, -v60
	v_mul_f32_e32 v62, 0xbe750f2a, v36
	v_fmac_f32_e32 v60, 0xbf788fa5, v46
	v_add_f32_e32 v59, v59, v63
	v_mov_b32_e32 v63, v62
	v_add_f32_e32 v60, v60, v64
	v_fma_f32 v62, v47, s15, -v62
	v_mul_f32_e32 v64, 0x3f29c268, v37
	v_add_f32_e32 v61, v61, v65
	v_fmac_f32_e32 v63, 0xbf788fa5, v47
	v_add_f32_e32 v62, v62, v68
	v_fma_f32 v65, v46, s14, -v64
	v_mul_f32_e32 v68, 0x3f29c268, v36
	v_fmac_f32_e32 v64, 0xbf3f9e67, v46
	v_add_f32_e32 v63, v63, v69
	v_mov_b32_e32 v69, v68
	v_add_f32_e32 v64, v64, v70
	v_fma_f32 v68, v47, s14, -v68
	v_mul_f32_e32 v70, 0x3f7e222b, v37
	v_add_f32_e32 v65, v65, v71
	v_add_f32_e32 v68, v68, v99
	v_fma_f32 v71, v46, s0, -v70
	v_mul_f32_e32 v99, 0x3f7e222b, v36
	v_mul_f32_e32 v36, 0x3eedf032, v36
	v_add_f32_e32 v71, v71, v102
	v_fmac_f32_e32 v70, 0x3df6dbef, v46
	v_mul_f32_e32 v37, 0x3eedf032, v37
	v_mov_b32_e32 v102, v36
	v_fma_f32 v36, v47, s12, -v36
	v_add_f32_e32 v70, v70, v101
	v_fma_f32 v101, v46, s12, -v37
	v_fmac_f32_e32 v37, 0x3f62ad3f, v46
	v_add_f32_e32 v36, v36, v45
	v_add_f32_e32 v45, v41, v39
	v_sub_f32_e32 v39, v39, v41
	v_add_f32_e32 v37, v37, v44
	v_add_f32_e32 v44, v40, v38
	v_sub_f32_e32 v38, v38, v40
	v_mul_f32_e32 v40, 0xbf7e222b, v39
	v_fma_f32 v41, v44, s0, -v40
	v_fmac_f32_e32 v69, 0xbf3f9e67, v47
	v_add_f32_e32 v41, v41, v43
	v_mul_f32_e32 v43, 0xbf7e222b, v38
	v_fmac_f32_e32 v40, 0x3df6dbef, v44
	v_add_f32_e32 v69, v69, v100
	v_mov_b32_e32 v100, v99
	v_mov_b32_e32 v46, v43
	v_add_f32_e32 v40, v40, v42
	v_fma_f32 v42, v45, s0, -v43
	v_mul_f32_e32 v43, 0xbe750f2a, v39
	v_fmac_f32_e32 v100, 0x3df6dbef, v47
	v_fma_f32 v99, v47, s0, -v99
	v_fmac_f32_e32 v102, 0x3f62ad3f, v47
	v_fma_f32 v47, v44, s15, -v43
	v_fmac_f32_e32 v43, 0xbf788fa5, v44
	v_fmac_f32_e32 v46, 0x3df6dbef, v45
	v_add_f32_e32 v42, v42, v54
	v_mul_f32_e32 v54, 0xbe750f2a, v38
	v_add_f32_e32 v43, v43, v55
	v_mul_f32_e32 v55, 0x3f6f5d39, v39
	v_add_f32_e32 v46, v46, v56
	v_add_f32_e32 v47, v47, v57
	v_mov_b32_e32 v56, v54
	v_fma_f32 v54, v45, s15, -v54
	v_fma_f32 v57, v44, s13, -v55
	v_fmac_f32_e32 v55, 0xbeb58ec6, v44
	v_fmac_f32_e32 v56, 0xbf788fa5, v45
	v_add_f32_e32 v54, v54, v58
	v_mul_f32_e32 v58, 0x3f6f5d39, v38
	v_add_f32_e32 v55, v55, v60
	v_mul_f32_e32 v60, 0x3eedf032, v39
	v_add_f32_e32 v56, v56, v59
	v_add_f32_e32 v57, v57, v61
	v_mov_b32_e32 v59, v58
	v_fma_f32 v58, v45, s13, -v58
	;; [unrolled: 11-line block ×3, first 2 shown]
	v_fma_f32 v65, v44, s1, -v64
	v_fmac_f32_e32 v64, 0x3f116cb1, v44
	v_mul_f32_e32 v39, 0xbf29c268, v39
	v_add_f32_e32 v62, v62, v68
	v_mul_f32_e32 v68, 0xbf52af12, v38
	v_add_f32_e32 v64, v64, v70
	v_fma_f32 v70, v44, s14, -v39
	v_mul_f32_e32 v38, 0xbf29c268, v38
	v_fmac_f32_e32 v39, 0xbf3f9e67, v44
	v_add_f32_e32 v65, v65, v71
	v_mov_b32_e32 v71, v38
	v_add_f32_e32 v37, v39, v37
	v_fma_f32 v38, v45, s14, -v38
	v_add_f32_e32 v39, v35, v13
	v_sub_f32_e32 v13, v13, v35
	v_add_f32_e32 v36, v38, v36
	v_add_f32_e32 v38, v34, v12
	v_sub_f32_e32 v12, v12, v34
	v_mul_f32_e32 v34, 0xbf6f5d39, v13
	v_fma_f32 v35, v38, s13, -v34
	v_fmac_f32_e32 v63, 0x3f62ad3f, v45
	v_add_f32_e32 v35, v35, v41
	v_mul_f32_e32 v41, 0xbf6f5d39, v12
	v_fmac_f32_e32 v34, 0xbeb58ec6, v38
	v_add_f32_e32 v63, v63, v69
	v_mov_b32_e32 v69, v68
	v_mov_b32_e32 v44, v41
	v_add_f32_e32 v34, v34, v40
	v_fma_f32 v40, v39, s13, -v41
	v_mul_f32_e32 v41, 0x3f29c268, v13
	v_fmac_f32_e32 v69, 0x3f116cb1, v45
	v_fma_f32 v68, v45, s1, -v68
	v_fmac_f32_e32 v71, 0xbf3f9e67, v45
	v_fmac_f32_e32 v44, 0xbeb58ec6, v39
	v_add_f32_e32 v40, v40, v42
	v_fma_f32 v42, v38, s14, -v41
	v_mul_f32_e32 v45, 0x3f29c268, v12
	v_fmac_f32_e32 v41, 0xbf3f9e67, v38
	v_add_f32_e32 v44, v44, v46
	v_mov_b32_e32 v46, v45
	v_add_f32_e32 v41, v41, v43
	v_fma_f32 v43, v39, s14, -v45
	v_mul_f32_e32 v45, 0x3eedf032, v13
	v_add_f32_e32 v42, v42, v47
	v_fma_f32 v47, v38, s12, -v45
	v_fmac_f32_e32 v45, 0x3f62ad3f, v38
	v_fmac_f32_e32 v46, 0xbf3f9e67, v39
	v_add_f32_e32 v43, v43, v54
	v_mul_f32_e32 v54, 0x3eedf032, v12
	v_add_f32_e32 v45, v45, v55
	v_mul_f32_e32 v55, 0xbf7e222b, v13
	v_add_f32_e32 v46, v46, v56
	v_add_f32_e32 v47, v47, v57
	v_mov_b32_e32 v56, v54
	v_fma_f32 v54, v39, s12, -v54
	v_fma_f32 v57, v38, s0, -v55
	v_fmac_f32_e32 v55, 0x3df6dbef, v38
	v_fmac_f32_e32 v56, 0x3f62ad3f, v39
	v_add_f32_e32 v54, v54, v58
	v_mul_f32_e32 v58, 0xbf7e222b, v12
	v_add_f32_e32 v55, v55, v60
	v_mul_f32_e32 v60, 0x3e750f2a, v13
	v_add_f32_e32 v56, v56, v59
	v_add_f32_e32 v57, v57, v61
	v_mov_b32_e32 v59, v58
	v_fma_f32 v58, v39, s0, -v58
	v_fma_f32 v61, v38, s15, -v60
	v_fmac_f32_e32 v60, 0xbf788fa5, v38
	v_mul_f32_e32 v13, 0x3f52af12, v13
	v_add_f32_e32 v58, v58, v62
	v_mul_f32_e32 v62, 0x3e750f2a, v12
	v_add_f32_e32 v60, v60, v64
	v_fma_f32 v64, v38, s1, -v13
	v_mul_f32_e32 v12, 0x3f52af12, v12
	v_fmac_f32_e32 v13, 0x3f116cb1, v38
	v_add_f32_e32 v61, v61, v65
	v_mov_b32_e32 v65, v12
	v_add_f32_e32 v13, v13, v37
	v_fma_f32 v12, v39, s1, -v12
	v_add_f32_e32 v37, v33, v15
	v_sub_f32_e32 v15, v15, v33
	v_add_f32_e32 v12, v12, v36
	v_add_f32_e32 v36, v32, v14
	v_sub_f32_e32 v14, v14, v32
	v_mul_f32_e32 v32, 0xbf29c268, v15
	v_fma_f32 v33, v36, s14, -v32
	v_fmac_f32_e32 v59, 0x3df6dbef, v39
	v_add_f32_e32 v33, v33, v35
	v_mul_f32_e32 v35, 0xbf29c268, v14
	v_fmac_f32_e32 v32, 0xbf3f9e67, v36
	v_add_f32_e32 v59, v59, v63
	v_mov_b32_e32 v63, v62
	v_mov_b32_e32 v38, v35
	v_add_f32_e32 v32, v32, v34
	v_fma_f32 v34, v37, s14, -v35
	v_mul_f32_e32 v35, 0x3f7e222b, v15
	v_fmac_f32_e32 v63, 0xbf788fa5, v39
	v_fma_f32 v62, v39, s15, -v62
	v_fmac_f32_e32 v65, 0x3f116cb1, v39
	v_add_f32_e32 v34, v34, v40
	v_fma_f32 v39, v36, s0, -v35
	v_mul_f32_e32 v40, 0x3f7e222b, v14
	v_fmac_f32_e32 v38, 0xbf3f9e67, v37
	v_add_f32_e32 v39, v39, v42
	v_mov_b32_e32 v42, v40
	v_add_f32_e32 v38, v38, v44
	v_fmac_f32_e32 v42, 0x3df6dbef, v37
	v_fmac_f32_e32 v35, 0x3df6dbef, v36
	v_mul_f32_e32 v44, 0xbf52af12, v14
	v_add_f32_e32 v42, v42, v46
	v_add_f32_e32 v35, v35, v41
	v_fma_f32 v40, v37, s0, -v40
	v_mul_f32_e32 v41, 0xbf52af12, v15
	v_mov_b32_e32 v46, v44
	v_fma_f32 v44, v37, s1, -v44
	v_add_f32_e32 v101, v101, v105
	v_add_f32_e32 v40, v40, v43
	v_fma_f32 v43, v36, s1, -v41
	v_fmac_f32_e32 v46, 0x3f116cb1, v37
	v_fmac_f32_e32 v41, 0x3f116cb1, v36
	v_add_f32_e32 v44, v44, v54
	v_mul_f32_e32 v54, 0x3e750f2a, v14
	v_add_f32_e32 v70, v70, v101
	v_add_f32_e32 v46, v46, v56
	v_add_f32_e32 v41, v41, v45
	v_mul_f32_e32 v45, 0x3e750f2a, v15
	v_mov_b32_e32 v56, v54
	v_fma_f32 v54, v37, s15, -v54
	v_add_f32_e32 v102, v102, v106
	v_add_f32_e32 v64, v64, v70
	;; [unrolled: 1-line block ×3, first 2 shown]
	v_fma_f32 v47, v36, s15, -v45
	v_fmac_f32_e32 v45, 0xbf788fa5, v36
	v_add_f32_e32 v70, v54, v58
	v_mul_f32_e32 v54, 0x3eedf032, v15
	v_add_f32_e32 v99, v99, v103
	v_add_f32_e32 v71, v71, v102
	;; [unrolled: 1-line block ×3, first 2 shown]
	v_fma_f32 v55, v36, s12, -v54
	v_add_f32_e32 v100, v100, v104
	v_add_f32_e32 v68, v68, v99
	;; [unrolled: 1-line block ×4, first 2 shown]
	v_mul_f32_e32 v55, 0x3eedf032, v14
	v_fmac_f32_e32 v54, 0x3f62ad3f, v36
	v_add_f32_e32 v69, v69, v100
	v_add_f32_e32 v62, v62, v68
	;; [unrolled: 1-line block ×3, first 2 shown]
	v_fma_f32 v54, v37, s12, -v55
	v_mul_f32_e32 v15, 0xbf6f5d39, v15
	v_add_f32_e32 v101, v54, v62
	v_fma_f32 v54, v36, s13, -v15
	v_mul_f32_e32 v14, 0xbf6f5d39, v14
	v_fmac_f32_e32 v15, 0xbeb58ec6, v36
	v_fmac_f32_e32 v56, 0xbf788fa5, v37
	v_add_f32_e32 v102, v54, v64
	v_mov_b32_e32 v54, v14
	v_add_f32_e32 v13, v15, v13
	v_fma_f32 v14, v37, s13, -v14
	v_add_f32_e32 v15, v3, v1
	v_sub_f32_e32 v3, v1, v3
	v_add_f32_e32 v63, v63, v69
	v_add_f32_e32 v69, v56, v59
	v_mov_b32_e32 v56, v55
	v_add_f32_e32 v12, v14, v12
	v_add_f32_e32 v14, v2, v0
	v_sub_f32_e32 v2, v0, v2
	v_mul_f32_e32 v0, 0xbe750f2a, v3
	v_fmac_f32_e32 v56, 0x3f62ad3f, v37
	v_fma_f32 v1, v14, s15, -v0
	v_add_f32_e32 v99, v56, v63
	v_add_f32_e32 v56, v1, v33
	v_mul_f32_e32 v1, 0xbe750f2a, v2
	v_mov_b32_e32 v33, v1
	v_fmac_f32_e32 v0, 0xbf788fa5, v14
	v_fmac_f32_e32 v33, 0xbf788fa5, v15
	v_add_f32_e32 v0, v0, v32
	v_mul_f32_e32 v32, 0x3eedf032, v3
	v_add_f32_e32 v47, v47, v57
	v_add_f32_e32 v57, v33, v38
	v_fma_f32 v33, v14, s12, -v32
	v_fmac_f32_e32 v54, 0xbeb58ec6, v37
	v_add_f32_e32 v60, v33, v39
	v_mul_f32_e32 v33, 0x3eedf032, v2
	v_fmac_f32_e32 v32, 0x3f62ad3f, v14
	v_add_f32_e32 v103, v54, v65
	v_add_f32_e32 v54, v32, v35
	v_fma_f32 v32, v15, s12, -v33
	v_fma_f32 v1, v15, s15, -v1
	v_add_f32_e32 v55, v32, v40
	v_mul_f32_e32 v32, 0xbf29c268, v3
	v_add_f32_e32 v1, v1, v34
	v_mov_b32_e32 v34, v33
	v_fma_f32 v33, v14, s14, -v32
	v_add_f32_e32 v62, v33, v43
	v_mul_f32_e32 v33, 0xbf29c268, v2
	v_fmac_f32_e32 v32, 0xbf3f9e67, v14
	v_add_f32_e32 v58, v32, v41
	v_fma_f32 v32, v15, s14, -v33
	v_fmac_f32_e32 v34, 0x3f62ad3f, v15
	v_add_f32_e32 v59, v32, v44
	v_mul_f32_e32 v32, 0x3f52af12, v3
	v_add_f32_e32 v61, v34, v42
	v_mov_b32_e32 v34, v33
	v_fma_f32 v33, v14, s1, -v32
	v_add_f32_e32 v68, v33, v47
	v_mul_f32_e32 v33, 0x3f52af12, v2
	v_fmac_f32_e32 v32, 0x3f116cb1, v14
	v_add_f32_e32 v64, v32, v45
	v_fma_f32 v32, v15, s1, -v33
	v_fmac_f32_e32 v34, 0xbf3f9e67, v15
	v_add_f32_e32 v65, v32, v70
	v_mul_f32_e32 v32, 0xbf6f5d39, v3
	v_add_f32_e32 v63, v34, v46
	v_mov_b32_e32 v34, v33
	v_fma_f32 v33, v14, s13, -v32
	v_fmac_f32_e32 v34, 0x3f116cb1, v15
	v_add_f32_e32 v70, v33, v71
	v_mul_f32_e32 v33, 0xbf6f5d39, v2
	v_add_f32_e32 v69, v34, v69
	v_mov_b32_e32 v34, v33
	v_fmac_f32_e32 v34, 0xbeb58ec6, v15
	v_fmac_f32_e32 v32, 0xbeb58ec6, v14
	v_add_f32_e32 v71, v34, v99
	v_add_f32_e32 v99, v32, v100
	v_fma_f32 v32, v15, s13, -v33
	v_mul_f32_e32 v3, 0x3f7e222b, v3
	v_add_f32_e32 v100, v32, v101
	v_fma_f32 v32, v14, s0, -v3
	v_mul_f32_e32 v2, 0x3f7e222b, v2
	v_add_f32_e32 v101, v32, v102
	v_mov_b32_e32 v32, v2
	v_fma_f32 v2, v15, s0, -v2
	v_fmac_f32_e32 v32, 0x3df6dbef, v15
	v_fmac_f32_e32 v3, 0x3df6dbef, v14
	v_add_f32_e32 v104, v2, v12
	v_sub_f32_e32 v12, v6, v50
	v_add_f32_e32 v102, v32, v103
	v_add_f32_e32 v103, v3, v13
	v_sub_f32_e32 v13, v7, v51
	v_mul_f32_e32 v32, 0xbeedf032, v12
	v_mul_f32_e32 v36, 0xbf52af12, v12
	;; [unrolled: 1-line block ×6, first 2 shown]
	v_add_f32_e32 v2, v50, v6
	v_add_f32_e32 v3, v51, v7
	v_mul_f32_e32 v14, 0xbeedf032, v13
	v_mov_b32_e32 v33, v32
	v_mov_b32_e32 v37, v36
	;; [unrolled: 1-line block ×6, first 2 shown]
	v_sub_f32_e32 v110, v21, v31
	v_fma_f32 v15, v2, s12, -v14
	v_fmac_f32_e32 v33, 0x3f62ad3f, v3
	v_fma_f32 v32, v3, s12, -v32
	v_mul_f32_e32 v34, 0xbf52af12, v13
	v_fmac_f32_e32 v37, 0x3f116cb1, v3
	v_fma_f32 v36, v3, s1, -v36
	v_mul_f32_e32 v38, 0xbf7e222b, v13
	;; [unrolled: 3-line block ×5, first 2 shown]
	v_fmac_f32_e32 v108, 0xbf788fa5, v3
	v_fma_f32 v3, v3, s15, -v12
	v_add_f32_e32 v12, v30, v20
	v_mul_f32_e32 v111, 0xbf52af12, v110
	v_add_f32_e32 v15, v15, v4
	v_fmac_f32_e32 v14, 0x3f62ad3f, v2
	v_fma_f32 v107, v2, s15, -v13
	v_fmac_f32_e32 v13, 0xbf788fa5, v2
	v_sub_f32_e32 v109, v20, v30
	v_fma_f32 v112, v12, s1, -v111
	v_add_f32_e32 v14, v14, v4
	v_fma_f32 v35, v2, s1, -v34
	v_fmac_f32_e32 v34, 0x3f116cb1, v2
	v_fma_f32 v39, v2, s0, -v38
	v_fmac_f32_e32 v38, 0x3df6dbef, v2
	;; [unrolled: 2-line block ×4, first 2 shown]
	v_add_f32_e32 v2, v13, v4
	v_add_f32_e32 v13, v31, v21
	;; [unrolled: 1-line block ×3, first 2 shown]
	v_mul_f32_e32 v112, 0xbf52af12, v109
	v_fmac_f32_e32 v111, 0x3f116cb1, v12
	v_add_f32_e32 v32, v32, v5
	v_add_f32_e32 v14, v111, v14
	v_fma_f32 v111, v13, s1, -v112
	v_add_f32_e32 v32, v111, v32
	v_mul_f32_e32 v111, 0xbf6f5d39, v110
	v_add_f32_e32 v35, v35, v4
	v_mov_b32_e32 v113, v112
	v_fma_f32 v112, v12, s13, -v111
	v_add_f32_e32 v34, v34, v4
	v_add_f32_e32 v35, v112, v35
	v_mul_f32_e32 v112, 0xbf6f5d39, v109
	v_fmac_f32_e32 v111, 0xbeb58ec6, v12
	v_add_f32_e32 v36, v36, v5
	v_add_f32_e32 v34, v111, v34
	v_fma_f32 v111, v13, s13, -v112
	v_add_f32_e32 v33, v33, v5
	v_fmac_f32_e32 v113, 0x3f116cb1, v13
	v_add_f32_e32 v36, v111, v36
	v_mul_f32_e32 v111, 0xbe750f2a, v110
	v_add_f32_e32 v39, v39, v4
	v_add_f32_e32 v33, v113, v33
	v_mov_b32_e32 v113, v112
	v_fma_f32 v112, v12, s15, -v111
	v_add_f32_e32 v38, v38, v4
	v_add_f32_e32 v39, v112, v39
	v_mul_f32_e32 v112, 0xbe750f2a, v109
	v_fmac_f32_e32 v111, 0xbf788fa5, v12
	v_add_f32_e32 v40, v40, v5
	v_add_f32_e32 v38, v111, v38
	v_fma_f32 v111, v13, s15, -v112
	v_add_f32_e32 v37, v37, v5
	v_fmac_f32_e32 v113, 0xbeb58ec6, v13
	v_add_f32_e32 v40, v111, v40
	v_mul_f32_e32 v111, 0x3f29c268, v110
	v_add_f32_e32 v43, v43, v4
	;; [unrolled: 15-line block ×3, first 2 shown]
	v_add_f32_e32 v41, v113, v41
	v_mov_b32_e32 v113, v112
	v_fma_f32 v112, v12, s0, -v111
	v_add_f32_e32 v46, v46, v4
	v_add_f32_e32 v47, v112, v47
	v_mul_f32_e32 v112, 0x3f7e222b, v109
	v_fmac_f32_e32 v111, 0x3df6dbef, v12
	v_add_f32_e32 v105, v105, v5
	v_add_f32_e32 v46, v111, v46
	v_fma_f32 v111, v13, s0, -v112
	v_mul_f32_e32 v110, 0x3eedf032, v110
	v_add_f32_e32 v107, v107, v4
	v_add_f32_e32 v105, v111, v105
	v_fma_f32 v111, v12, s12, -v110
	v_mul_f32_e32 v109, 0x3eedf032, v109
	v_add_f32_e32 v107, v111, v107
	v_mov_b32_e32 v111, v109
	v_fmac_f32_e32 v110, 0x3f62ad3f, v12
	v_add_f32_e32 v108, v108, v5
	v_add_f32_e32 v3, v3, v5
	v_fmac_f32_e32 v111, 0x3f62ad3f, v13
	v_add_f32_e32 v2, v110, v2
	v_fma_f32 v12, v13, s12, -v109
	v_sub_f32_e32 v110, v23, v29
	v_add_f32_e32 v45, v45, v5
	v_fmac_f32_e32 v113, 0xbf3f9e67, v13
	v_add_f32_e32 v108, v111, v108
	v_add_f32_e32 v3, v12, v3
	;; [unrolled: 1-line block ×3, first 2 shown]
	v_mul_f32_e32 v111, 0xbf7e222b, v110
	v_add_f32_e32 v45, v113, v45
	v_mov_b32_e32 v113, v112
	v_sub_f32_e32 v109, v22, v28
	v_fma_f32 v112, v12, s0, -v111
	v_fmac_f32_e32 v113, 0x3df6dbef, v13
	v_add_f32_e32 v13, v29, v23
	v_add_f32_e32 v15, v112, v15
	v_mul_f32_e32 v112, 0xbf7e222b, v109
	v_fmac_f32_e32 v111, 0x3df6dbef, v12
	v_add_f32_e32 v14, v111, v14
	v_fma_f32 v111, v13, s0, -v112
	v_add_f32_e32 v106, v106, v5
	v_add_f32_e32 v32, v111, v32
	v_mul_f32_e32 v111, 0xbe750f2a, v110
	v_add_f32_e32 v106, v113, v106
	v_mov_b32_e32 v113, v112
	v_fma_f32 v112, v12, s15, -v111
	v_add_f32_e32 v35, v112, v35
	v_mul_f32_e32 v112, 0xbe750f2a, v109
	v_fmac_f32_e32 v111, 0xbf788fa5, v12
	v_add_f32_e32 v34, v111, v34
	v_fma_f32 v111, v13, s15, -v112
	v_fmac_f32_e32 v113, 0x3df6dbef, v13
	v_add_f32_e32 v36, v111, v36
	v_mul_f32_e32 v111, 0x3f6f5d39, v110
	v_add_f32_e32 v33, v113, v33
	v_mov_b32_e32 v113, v112
	v_fma_f32 v112, v12, s13, -v111
	v_add_f32_e32 v39, v112, v39
	v_mul_f32_e32 v112, 0x3f6f5d39, v109
	v_fmac_f32_e32 v111, 0xbeb58ec6, v12
	v_add_f32_e32 v38, v111, v38
	v_fma_f32 v111, v13, s13, -v112
	v_fmac_f32_e32 v113, 0xbf788fa5, v13
	;; [unrolled: 11-line block ×3, first 2 shown]
	v_add_f32_e32 v44, v111, v44
	v_mul_f32_e32 v111, 0xbf52af12, v110
	v_add_f32_e32 v41, v113, v41
	v_mov_b32_e32 v113, v112
	v_fma_f32 v112, v12, s1, -v111
	v_add_f32_e32 v47, v112, v47
	v_mul_f32_e32 v112, 0xbf52af12, v109
	v_fmac_f32_e32 v111, 0x3f116cb1, v12
	v_add_f32_e32 v46, v111, v46
	v_fma_f32 v111, v13, s1, -v112
	v_mul_f32_e32 v110, 0xbf29c268, v110
	v_add_f32_e32 v105, v111, v105
	v_fma_f32 v111, v12, s14, -v110
	v_mul_f32_e32 v109, 0xbf29c268, v109
	v_add_f32_e32 v107, v111, v107
	v_mov_b32_e32 v111, v109
	v_fmac_f32_e32 v110, 0xbf3f9e67, v12
	v_fmac_f32_e32 v111, 0xbf3f9e67, v13
	v_add_f32_e32 v2, v110, v2
	v_fma_f32 v12, v13, s14, -v109
	v_sub_f32_e32 v110, v25, v19
	v_fmac_f32_e32 v113, 0x3f62ad3f, v13
	v_add_f32_e32 v108, v111, v108
	v_add_f32_e32 v3, v12, v3
	;; [unrolled: 1-line block ×3, first 2 shown]
	v_mul_f32_e32 v111, 0xbf6f5d39, v110
	v_add_f32_e32 v45, v113, v45
	v_mov_b32_e32 v113, v112
	v_sub_f32_e32 v109, v24, v18
	v_fma_f32 v112, v12, s13, -v111
	v_fmac_f32_e32 v113, 0x3f116cb1, v13
	v_add_f32_e32 v13, v19, v25
	v_add_f32_e32 v15, v112, v15
	v_mul_f32_e32 v112, 0xbf6f5d39, v109
	v_fmac_f32_e32 v111, 0xbeb58ec6, v12
	v_add_f32_e32 v14, v111, v14
	v_fma_f32 v111, v13, s13, -v112
	v_add_f32_e32 v32, v111, v32
	v_mul_f32_e32 v111, 0x3f29c268, v110
	v_add_f32_e32 v106, v113, v106
	v_mov_b32_e32 v113, v112
	v_fma_f32 v112, v12, s14, -v111
	v_add_f32_e32 v35, v112, v35
	v_mul_f32_e32 v112, 0x3f29c268, v109
	v_fmac_f32_e32 v111, 0xbf3f9e67, v12
	v_add_f32_e32 v34, v111, v34
	v_fma_f32 v111, v13, s14, -v112
	v_fmac_f32_e32 v113, 0xbeb58ec6, v13
	v_add_f32_e32 v36, v111, v36
	v_mul_f32_e32 v111, 0x3eedf032, v110
	v_add_f32_e32 v33, v113, v33
	v_mov_b32_e32 v113, v112
	v_fma_f32 v112, v12, s12, -v111
	v_add_f32_e32 v39, v112, v39
	v_mul_f32_e32 v112, 0x3eedf032, v109
	v_fmac_f32_e32 v111, 0x3f62ad3f, v12
	v_add_f32_e32 v38, v111, v38
	v_fma_f32 v111, v13, s12, -v112
	v_fmac_f32_e32 v113, 0xbf3f9e67, v13
	v_add_f32_e32 v40, v111, v40
	v_mul_f32_e32 v111, 0xbf7e222b, v110
	v_add_f32_e32 v37, v113, v37
	v_mov_b32_e32 v113, v112
	v_fma_f32 v112, v12, s0, -v111
	v_add_f32_e32 v43, v112, v43
	v_mul_f32_e32 v112, 0xbf7e222b, v109
	v_fmac_f32_e32 v111, 0x3df6dbef, v12
	v_add_f32_e32 v42, v111, v42
	v_fma_f32 v111, v13, s0, -v112
	v_fmac_f32_e32 v113, 0x3f62ad3f, v13
	v_add_f32_e32 v44, v111, v44
	v_mul_f32_e32 v111, 0x3e750f2a, v110
	v_add_f32_e32 v41, v113, v41
	v_mov_b32_e32 v113, v112
	v_fma_f32 v112, v12, s15, -v111
	v_add_f32_e32 v47, v112, v47
	v_mul_f32_e32 v112, 0x3e750f2a, v109
	v_fmac_f32_e32 v111, 0xbf788fa5, v12
	v_add_f32_e32 v46, v111, v46
	v_fma_f32 v111, v13, s15, -v112
	v_mul_f32_e32 v110, 0x3f52af12, v110
	v_add_f32_e32 v105, v111, v105
	v_fma_f32 v111, v12, s1, -v110
	v_mul_f32_e32 v109, 0x3f52af12, v109
	v_add_f32_e32 v107, v111, v107
	v_mov_b32_e32 v111, v109
	v_fmac_f32_e32 v110, 0x3f116cb1, v12
	v_fmac_f32_e32 v111, 0x3f116cb1, v13
	v_add_f32_e32 v2, v110, v2
	v_fma_f32 v12, v13, s1, -v109
	v_sub_f32_e32 v110, v27, v17
	v_fmac_f32_e32 v113, 0x3df6dbef, v13
	v_add_f32_e32 v108, v111, v108
	v_add_f32_e32 v3, v12, v3
	;; [unrolled: 1-line block ×3, first 2 shown]
	v_mul_f32_e32 v111, 0xbf29c268, v110
	v_add_f32_e32 v45, v113, v45
	v_mov_b32_e32 v113, v112
	v_sub_f32_e32 v109, v26, v16
	v_fma_f32 v112, v12, s14, -v111
	v_fmac_f32_e32 v113, 0xbf788fa5, v13
	v_add_f32_e32 v13, v17, v27
	v_add_f32_e32 v15, v112, v15
	v_mul_f32_e32 v112, 0xbf29c268, v109
	v_fmac_f32_e32 v111, 0xbf3f9e67, v12
	v_add_f32_e32 v14, v111, v14
	v_fma_f32 v111, v13, s14, -v112
	v_add_f32_e32 v32, v111, v32
	v_mul_f32_e32 v111, 0x3f7e222b, v110
	v_add_f32_e32 v106, v113, v106
	v_mov_b32_e32 v113, v112
	v_fma_f32 v112, v12, s0, -v111
	v_add_f32_e32 v35, v112, v35
	v_mul_f32_e32 v112, 0x3f7e222b, v109
	v_fmac_f32_e32 v111, 0x3df6dbef, v12
	v_add_f32_e32 v34, v111, v34
	v_fma_f32 v111, v13, s0, -v112
	v_fmac_f32_e32 v113, 0xbf3f9e67, v13
	v_add_f32_e32 v36, v111, v36
	v_mul_f32_e32 v111, 0xbf52af12, v110
	v_add_f32_e32 v33, v113, v33
	v_mov_b32_e32 v113, v112
	v_fma_f32 v112, v12, s1, -v111
	v_add_f32_e32 v39, v112, v39
	v_mul_f32_e32 v112, 0xbf52af12, v109
	v_fmac_f32_e32 v111, 0x3f116cb1, v12
	v_add_f32_e32 v38, v111, v38
	v_fma_f32 v111, v13, s1, -v112
	v_fmac_f32_e32 v113, 0x3df6dbef, v13
	;; [unrolled: 11-line block ×3, first 2 shown]
	v_add_f32_e32 v44, v111, v44
	v_mul_f32_e32 v111, 0x3eedf032, v110
	v_add_f32_e32 v41, v113, v41
	v_mov_b32_e32 v113, v112
	v_fma_f32 v112, v12, s12, -v111
	v_fmac_f32_e32 v113, 0xbf788fa5, v13
	v_add_f32_e32 v47, v112, v47
	v_mul_f32_e32 v112, 0x3eedf032, v109
	v_fmac_f32_e32 v111, 0x3f62ad3f, v12
	v_add_f32_e32 v45, v113, v45
	v_mov_b32_e32 v113, v112
	v_add_f32_e32 v46, v111, v46
	v_fma_f32 v111, v13, s12, -v112
	v_mul_f32_e32 v110, 0xbf6f5d39, v110
	v_fmac_f32_e32 v113, 0x3f62ad3f, v13
	v_add_f32_e32 v105, v111, v105
	v_fma_f32 v111, v12, s13, -v110
	v_mul_f32_e32 v109, 0xbf6f5d39, v109
	v_fmac_f32_e32 v110, 0xbeb58ec6, v12
	v_sub_f32_e32 v120, v9, v11
	v_add_f32_e32 v106, v113, v106
	v_add_f32_e32 v107, v111, v107
	v_mov_b32_e32 v111, v109
	v_add_f32_e32 v110, v110, v2
	v_fma_f32 v2, v13, s13, -v109
	v_add_f32_e32 v113, v10, v8
	v_sub_f32_e32 v119, v8, v10
	v_mul_f32_e32 v12, 0xbe750f2a, v120
	v_fmac_f32_e32 v111, 0xbeb58ec6, v13
	v_add_f32_e32 v109, v2, v3
	v_add_f32_e32 v114, v11, v9
	v_fma_f32 v2, v113, s15, -v12
	v_mul_f32_e32 v13, 0xbe750f2a, v119
	v_fmac_f32_e32 v12, 0xbf788fa5, v113
	v_add_f32_e32 v108, v111, v108
	v_add_f32_e32 v111, v12, v14
	v_fma_f32 v12, v114, s15, -v13
	v_mul_f32_e32 v14, 0x3eedf032, v120
	v_add_f32_e32 v2, v2, v15
	v_add_f32_e32 v112, v12, v32
	v_fma_f32 v12, v113, s12, -v14
	v_mul_f32_e32 v15, 0x3eedf032, v119
	v_fmac_f32_e32 v14, 0x3f62ad3f, v113
	v_mov_b32_e32 v3, v13
	v_add_f32_e32 v34, v14, v34
	v_fma_f32 v14, v114, s12, -v15
	v_mul_f32_e32 v32, 0xbf29c268, v120
	v_fmac_f32_e32 v3, 0xbf788fa5, v114
	v_add_f32_e32 v12, v12, v35
	v_add_f32_e32 v35, v14, v36
	v_fma_f32 v14, v113, s14, -v32
	v_fmac_f32_e32 v32, 0xbf3f9e67, v113
	v_add_f32_e32 v3, v3, v33
	v_mul_f32_e32 v33, 0xbf29c268, v119
	v_add_f32_e32 v32, v32, v38
	v_mul_f32_e32 v38, 0x3f52af12, v120
	v_mov_b32_e32 v13, v15
	v_add_f32_e32 v14, v14, v39
	v_mov_b32_e32 v15, v33
	v_fma_f32 v33, v114, s14, -v33
	v_fma_f32 v36, v113, s1, -v38
	v_mul_f32_e32 v39, 0x3f52af12, v119
	v_fmac_f32_e32 v38, 0x3f116cb1, v113
	v_fmac_f32_e32 v13, 0x3f62ad3f, v114
	v_add_f32_e32 v33, v33, v40
	v_add_f32_e32 v42, v38, v42
	v_fma_f32 v38, v114, s1, -v39
	v_mul_f32_e32 v40, 0xbf6f5d39, v120
	v_add_f32_e32 v13, v13, v37
	v_fmac_f32_e32 v15, 0xbf3f9e67, v114
	v_add_f32_e32 v36, v36, v43
	v_mov_b32_e32 v37, v39
	v_add_f32_e32 v43, v38, v44
	v_fma_f32 v38, v113, s13, -v40
	v_add_f32_e32 v15, v15, v41
	v_fmac_f32_e32 v37, 0x3f116cb1, v114
	v_add_f32_e32 v38, v38, v47
	v_mul_f32_e32 v41, 0xbf6f5d39, v119
	v_fmac_f32_e32 v40, 0xbeb58ec6, v113
	v_mul_f32_e32 v47, 0x3f7e222b, v119
	v_add_f32_e32 v37, v37, v45
	v_mov_b32_e32 v39, v41
	v_add_f32_e32 v40, v40, v46
	v_fma_f32 v41, v114, s13, -v41
	v_mul_f32_e32 v46, 0x3f7e222b, v120
	v_mov_b32_e32 v45, v47
	v_fmac_f32_e32 v39, 0xbeb58ec6, v114
	v_add_f32_e32 v41, v41, v105
	v_fma_f32 v44, v113, s0, -v46
	v_fmac_f32_e32 v45, 0x3df6dbef, v114
	v_fmac_f32_e32 v46, 0x3df6dbef, v113
	v_fma_f32 v47, v114, s0, -v47
	v_mul_lo_u16_e32 v105, 13, v118
	v_add_f32_e32 v39, v39, v106
	v_add_f32_e32 v44, v44, v107
	;; [unrolled: 1-line block ×5, first 2 shown]
	v_lshl_add_u32 v124, v105, 3, v115
	s_waitcnt lgkmcnt(0)
	; wave barrier
	ds_write2_b64 v124, v[52:53], v[56:57] offset1:1
	ds_write2_b64 v124, v[60:61], v[62:63] offset0:2 offset1:3
	ds_write2_b64 v124, v[68:69], v[70:71] offset0:4 offset1:5
	;; [unrolled: 1-line block ×5, first 2 shown]
	ds_write_b64 v124, v[0:1] offset:96
	s_and_saveexec_b64 s[0:1], vcc
	s_cbranch_execz .LBB0_7
; %bb.6:
	v_add_f32_e32 v0, v7, v5
	v_add_f32_e32 v0, v21, v0
	;; [unrolled: 1-line block ×24, first 2 shown]
	ds_write2_b64 v115, v[0:1], v[2:3] offset0:169 offset1:170
	ds_write2_b64 v115, v[12:13], v[14:15] offset0:171 offset1:172
	;; [unrolled: 1-line block ×6, first 2 shown]
	ds_write_b64 v115, v[111:112] offset:1448
.LBB0_7:
	s_or_b64 exec, exec, s[0:1]
	v_add_u16_e32 v0, 26, v118
	s_movk_i32 s0, 0x4f
	v_mul_lo_u16_sdwa v1, v0, s0 dst_sel:DWORD dst_unused:UNUSED_PAD src0_sel:BYTE_0 src1_sel:DWORD
	v_lshrrev_b16_e32 v1, 10, v1
	v_mul_lo_u16_e32 v1, 13, v1
	v_sub_u16_e32 v0, v0, v1
	v_mov_b32_e32 v1, 3
	v_lshlrev_b32_sdwa v55, v1, v0 dst_sel:DWORD dst_unused:UNUSED_PAD src0_sel:DWORD src1_sel:BYTE_0
	v_add_u16_e32 v0, 39, v118
	v_mul_lo_u16_sdwa v4, v0, s0 dst_sel:DWORD dst_unused:UNUSED_PAD src0_sel:BYTE_0 src1_sel:DWORD
	v_lshrrev_b16_e32 v4, 10, v4
	v_mul_lo_u16_e32 v4, 13, v4
	v_sub_u16_e32 v0, v0, v4
	v_lshlrev_b32_sdwa v56, v1, v0 dst_sel:DWORD dst_unused:UNUSED_PAD src0_sel:DWORD src1_sel:BYTE_0
	v_add_u16_e32 v0, 52, v118
	v_mul_lo_u16_sdwa v4, v0, s0 dst_sel:DWORD dst_unused:UNUSED_PAD src0_sel:BYTE_0 src1_sel:DWORD
	v_lshrrev_b16_e32 v4, 10, v4
	v_mul_lo_u16_e32 v4, 13, v4
	v_sub_u16_e32 v0, v0, v4
	;; [unrolled: 6-line block ×3, first 2 shown]
	v_lshlrev_b32_sdwa v58, v1, v0 dst_sel:DWORD dst_unused:UNUSED_PAD src0_sel:DWORD src1_sel:BYTE_0
	v_add_u16_e32 v0, 0x4e, v118
	v_lshlrev_b32_e32 v50, 3, v118
	v_mul_lo_u16_sdwa v4, v0, s0 dst_sel:DWORD dst_unused:UNUSED_PAD src0_sel:BYTE_0 src1_sel:DWORD
	s_waitcnt lgkmcnt(0)
	; wave barrier
	s_waitcnt lgkmcnt(0)
	global_load_dwordx2 v[99:100], v50, s[4:5]
	v_lshrrev_b16_e32 v4, 10, v4
	v_mul_lo_u16_e32 v4, 13, v4
	v_sub_u16_e32 v0, v0, v4
	global_load_dwordx2 v[105:106], v55, s[4:5]
	global_load_dwordx2 v[103:104], v56, s[4:5]
	;; [unrolled: 1-line block ×3, first 2 shown]
	v_lshlrev_b32_sdwa v59, v1, v0 dst_sel:DWORD dst_unused:UNUSED_PAD src0_sel:DWORD src1_sel:BYTE_0
	global_load_dwordx2 v[109:110], v58, s[4:5]
	global_load_dwordx2 v[107:108], v59, s[4:5]
	ds_read2_b64 v[4:7], v117 offset1:13
	ds_read2_b64 v[8:11], v117 offset0:78 offset1:91
	ds_read2_b64 v[16:19], v117 offset0:104 offset1:117
	;; [unrolled: 1-line block ×6, first 2 shown]
	s_waitcnt lgkmcnt(0)
	; wave barrier
	s_waitcnt lgkmcnt(0)
	v_add_u32_e32 v119, v115, v55
	v_add_u32_e32 v120, v115, v56
	;; [unrolled: 1-line block ×5, first 2 shown]
	s_waitcnt vmcnt(5)
	v_mul_f32_e32 v0, v11, v100
	v_mul_f32_e32 v1, v10, v100
	;; [unrolled: 1-line block ×4, first 2 shown]
	v_fma_f32 v0, v10, v99, -v0
	v_fmac_f32_e32 v1, v11, v99
	v_fma_f32 v10, v16, v99, -v60
	v_fmac_f32_e32 v61, v17, v99
	v_sub_f32_e32 v0, v4, v0
	v_sub_f32_e32 v1, v5, v1
	;; [unrolled: 1-line block ×4, first 2 shown]
	v_fma_f32 v4, v4, 2.0, -v0
	v_fma_f32 v5, v5, 2.0, -v1
	s_waitcnt vmcnt(4)
	v_mul_f32_e32 v16, v19, v106
	s_waitcnt vmcnt(3)
	v_mul_f32_e32 v60, v25, v104
	;; [unrolled: 2-line block ×3, first 2 shown]
	v_mul_f32_e32 v63, v26, v102
	v_fma_f32 v6, v6, 2.0, -v10
	v_fma_f32 v7, v7, 2.0, -v11
	v_mul_f32_e32 v17, v18, v106
	v_mul_f32_e32 v61, v24, v104
	s_waitcnt vmcnt(1)
	v_mul_f32_e32 v64, v52, v110
	v_mul_f32_e32 v65, v51, v110
	s_waitcnt vmcnt(0)
	v_mul_f32_e32 v68, v54, v108
	v_mul_f32_e32 v69, v53, v108
	v_fma_f32 v16, v18, v105, -v16
	v_fma_f32 v18, v24, v103, -v60
	;; [unrolled: 1-line block ×3, first 2 shown]
	v_fmac_f32_e32 v63, v27, v101
	ds_write2_b64 v117, v[4:5], v[0:1] offset1:13
	ds_write2_b64 v117, v[6:7], v[10:11] offset0:26 offset1:39
	v_mad_u64_u32 v[0:1], s[0:1], v118, 48, s[4:5]
	v_fmac_f32_e32 v17, v19, v105
	v_fmac_f32_e32 v61, v25, v103
	v_fma_f32 v51, v51, v109, -v64
	v_fmac_f32_e32 v65, v52, v109
	v_fma_f32 v52, v53, v107, -v68
	v_fmac_f32_e32 v69, v54, v107
	v_sub_f32_e32 v24, v28, v24
	v_sub_f32_e32 v25, v29, v63
	;; [unrolled: 1-line block ×6, first 2 shown]
	v_fma_f32 v26, v28, 2.0, -v24
	v_fma_f32 v27, v29, 2.0, -v25
	v_sub_f32_e32 v28, v30, v51
	v_sub_f32_e32 v29, v31, v65
	;; [unrolled: 1-line block ×4, first 2 shown]
	v_fma_f32 v20, v20, 2.0, -v16
	v_fma_f32 v21, v21, 2.0, -v17
	;; [unrolled: 1-line block ×8, first 2 shown]
	ds_write2_b64 v119, v[20:21], v[16:17] offset0:52 offset1:65
	ds_write2_b64 v120, v[22:23], v[18:19] offset0:78 offset1:91
	;; [unrolled: 1-line block ×5, first 2 shown]
	s_waitcnt lgkmcnt(0)
	; wave barrier
	s_waitcnt lgkmcnt(0)
	global_load_dwordx4 v[24:27], v[0:1], off offset:104
	global_load_dwordx4 v[16:19], v[0:1], off offset:120
	;; [unrolled: 1-line block ×6, first 2 shown]
	ds_read2_b64 v[51:54], v117 offset1:13
	ds_read2_b64 v[55:58], v117 offset0:26 offset1:39
	ds_read2_b64 v[59:62], v117 offset0:52 offset1:65
	;; [unrolled: 1-line block ×6, first 2 shown]
	s_mov_b32 s0, 0x3f5ff5aa
	s_mov_b32 s1, 0x3f3bfb3b
	;; [unrolled: 1-line block ×4, first 2 shown]
	s_waitcnt vmcnt(5) lgkmcnt(5)
	v_mul_f32_e32 v1, v55, v25
	s_waitcnt vmcnt(4) lgkmcnt(3)
	v_mul_f32_e32 v65, v69, v17
	v_mul_f32_e32 v0, v56, v25
	s_waitcnt vmcnt(2)
	v_mul_f32_e32 v142, v58, v29
	v_mul_f32_e32 v63, v60, v27
	;; [unrolled: 1-line block ×3, first 2 shown]
	s_waitcnt lgkmcnt(2)
	v_mul_f32_e32 v114, v126, v19
	v_mul_f32_e32 v137, v125, v19
	s_waitcnt lgkmcnt(1)
	v_mul_f32_e32 v138, v130, v5
	s_waitcnt lgkmcnt(0)
	v_mul_f32_e32 v140, v134, v7
	v_mul_f32_e32 v143, v57, v29
	v_fmac_f32_e32 v1, v56, v24
	v_fma_f32 v56, v68, v16, -v65
	v_fma_f32 v65, v57, v28, -v142
	s_waitcnt vmcnt(0)
	v_mul_f32_e32 v57, v132, v9
	v_mul_f32_e32 v139, v129, v5
	;; [unrolled: 1-line block ×4, first 2 shown]
	v_fma_f32 v0, v55, v24, -v0
	v_fma_f32 v55, v59, v26, -v63
	v_fmac_f32_e32 v64, v60, v26
	v_fma_f32 v59, v125, v18, -v114
	v_fmac_f32_e32 v137, v126, v18
	v_fma_f32 v60, v129, v4, -v138
	v_fma_f32 v63, v133, v6, -v140
	v_mul_f32_e32 v125, v127, v23
	v_fma_f32 v126, v131, v8, -v57
	v_mul_f32_e32 v57, v136, v11
	v_mul_f32_e32 v113, v68, v17
	;; [unrolled: 1-line block ×4, first 2 shown]
	v_fmac_f32_e32 v139, v130, v4
	v_fmac_f32_e32 v141, v134, v6
	v_fma_f32 v114, v61, v30, -v144
	v_fmac_f32_e32 v125, v128, v22
	v_fma_f32 v128, v135, v10, -v57
	v_add_f32_e32 v57, v0, v63
	v_add_f32_e32 v61, v55, v60
	v_fmac_f32_e32 v113, v69, v16
	v_fmac_f32_e32 v143, v58, v28
	;; [unrolled: 1-line block ×3, first 2 shown]
	v_add_f32_e32 v58, v1, v141
	v_sub_f32_e32 v0, v0, v63
	v_add_f32_e32 v62, v64, v139
	v_add_f32_e32 v63, v56, v59
	;; [unrolled: 1-line block ×3, first 2 shown]
	v_mul_f32_e32 v147, v70, v21
	v_sub_f32_e32 v55, v55, v60
	v_sub_f32_e32 v60, v64, v139
	v_add_f32_e32 v64, v113, v137
	v_sub_f32_e32 v56, v59, v56
	v_sub_f32_e32 v59, v137, v113
	v_add_f32_e32 v69, v62, v58
	v_sub_f32_e32 v113, v61, v57
	v_sub_f32_e32 v57, v57, v63
	;; [unrolled: 1-line block ×3, first 2 shown]
	v_add_f32_e32 v63, v63, v68
	v_mul_f32_e32 v146, v71, v21
	v_fmac_f32_e32 v147, v71, v20
	v_fma_f32 v71, v127, v22, -v148
	v_mul_f32_e32 v127, v131, v9
	v_sub_f32_e32 v130, v62, v58
	v_sub_f32_e32 v58, v58, v64
	;; [unrolled: 1-line block ×3, first 2 shown]
	v_add_f32_e32 v64, v64, v69
	v_add_f32_e32 v51, v51, v63
	v_fmac_f32_e32 v127, v132, v8
	v_mul_f32_e32 v129, v135, v11
	v_sub_f32_e32 v1, v1, v141
	v_add_f32_e32 v131, v56, v55
	v_add_f32_e32 v132, v59, v60
	v_sub_f32_e32 v133, v56, v55
	v_sub_f32_e32 v134, v59, v60
	;; [unrolled: 1-line block ×3, first 2 shown]
	v_add_f32_e32 v52, v52, v64
	v_mov_b32_e32 v135, v51
	v_sub_f32_e32 v56, v0, v56
	v_sub_f32_e32 v59, v1, v59
	;; [unrolled: 1-line block ×3, first 2 shown]
	v_add_f32_e32 v0, v131, v0
	v_add_f32_e32 v1, v132, v1
	v_mul_f32_e32 v57, 0x3f4a47b2, v57
	v_mul_f32_e32 v58, 0x3f4a47b2, v58
	;; [unrolled: 1-line block ×7, first 2 shown]
	v_fmac_f32_e32 v135, 0xbf955555, v63
	v_mov_b32_e32 v63, v52
	v_mul_f32_e32 v134, 0x3f5ff5aa, v60
	v_fmac_f32_e32 v63, 0xbf955555, v64
	v_fma_f32 v64, v113, s1, -v68
	v_fma_f32 v68, v130, s1, -v69
	;; [unrolled: 1-line block ×3, first 2 shown]
	v_fmac_f32_e32 v57, 0x3d64c772, v61
	v_fma_f32 v61, v130, s4, -v58
	v_fmac_f32_e32 v58, 0x3d64c772, v62
	v_fma_f32 v62, v55, s0, -v131
	;; [unrolled: 2-line block ×3, first 2 shown]
	v_fma_f32 v130, v56, s5, -v133
	v_fma_f32 v70, v70, v20, -v146
	v_fmac_f32_e32 v129, v136, v10
	v_fmac_f32_e32 v132, 0x3eae86e6, v59
	v_fma_f32 v133, v59, s5, -v134
	v_add_f32_e32 v134, v57, v135
	v_add_f32_e32 v64, v64, v135
	;; [unrolled: 1-line block ×4, first 2 shown]
	v_fmac_f32_e32 v131, 0x3ee1c552, v0
	v_fmac_f32_e32 v62, 0x3ee1c552, v0
	v_fmac_f32_e32 v113, 0x3ee1c552, v1
	v_fmac_f32_e32 v130, 0x3ee1c552, v0
	v_add_f32_e32 v0, v65, v128
	v_sub_f32_e32 v65, v65, v128
	v_add_f32_e32 v128, v114, v126
	v_add_f32_e32 v136, v58, v63
	v_fmac_f32_e32 v132, 0x3ee1c552, v1
	v_fmac_f32_e32 v133, 0x3ee1c552, v1
	v_sub_f32_e32 v58, v135, v130
	v_sub_f32_e32 v59, v64, v113
	v_add_f32_e32 v61, v113, v64
	v_add_f32_e32 v64, v130, v135
	;; [unrolled: 1-line block ×3, first 2 shown]
	v_sub_f32_e32 v113, v143, v129
	v_add_f32_e32 v129, v145, v127
	v_sub_f32_e32 v114, v114, v126
	v_sub_f32_e32 v126, v145, v127
	v_add_f32_e32 v127, v70, v71
	v_add_f32_e32 v130, v147, v125
	v_sub_f32_e32 v70, v71, v70
	v_sub_f32_e32 v71, v125, v147
	v_add_f32_e32 v125, v128, v0
	v_add_f32_e32 v68, v68, v63
	v_sub_f32_e32 v56, v136, v131
	v_add_f32_e32 v57, v133, v69
	v_sub_f32_e32 v63, v69, v133
	v_add_f32_e32 v69, v131, v136
	v_add_f32_e32 v131, v129, v1
	;; [unrolled: 1-line block ×5, first 2 shown]
	v_sub_f32_e32 v62, v68, v62
	v_sub_f32_e32 v68, v134, v132
	;; [unrolled: 1-line block ×5, first 2 shown]
	v_add_f32_e32 v127, v130, v131
	v_add_f32_e32 v53, v53, v125
	v_sub_f32_e32 v133, v129, v1
	v_sub_f32_e32 v1, v1, v130
	;; [unrolled: 1-line block ×3, first 2 shown]
	v_add_f32_e32 v134, v70, v114
	v_add_f32_e32 v135, v71, v126
	v_sub_f32_e32 v136, v70, v114
	v_sub_f32_e32 v137, v71, v126
	;; [unrolled: 1-line block ×4, first 2 shown]
	v_add_f32_e32 v54, v54, v127
	v_mov_b32_e32 v138, v53
	v_sub_f32_e32 v70, v65, v70
	v_sub_f32_e32 v71, v113, v71
	v_add_f32_e32 v65, v134, v65
	v_add_f32_e32 v113, v135, v113
	v_mul_f32_e32 v0, 0x3f4a47b2, v0
	v_mul_f32_e32 v1, 0x3f4a47b2, v1
	;; [unrolled: 1-line block ×8, first 2 shown]
	v_fmac_f32_e32 v138, 0xbf955555, v125
	v_mov_b32_e32 v125, v54
	v_fmac_f32_e32 v125, 0xbf955555, v127
	v_fma_f32 v127, v132, s1, -v130
	v_fma_f32 v130, v133, s1, -v131
	;; [unrolled: 1-line block ×3, first 2 shown]
	v_fmac_f32_e32 v0, 0x3d64c772, v128
	v_fma_f32 v128, v133, s4, -v1
	v_fmac_f32_e32 v1, 0x3d64c772, v129
	v_fma_f32 v129, v114, s0, -v134
	;; [unrolled: 2-line block ×4, first 2 shown]
	v_fma_f32 v136, v71, s5, -v137
	v_add_f32_e32 v0, v0, v138
	v_add_f32_e32 v1, v1, v125
	;; [unrolled: 1-line block ×6, first 2 shown]
	v_fmac_f32_e32 v134, 0x3ee1c552, v65
	v_fmac_f32_e32 v135, 0x3ee1c552, v113
	;; [unrolled: 1-line block ×6, first 2 shown]
	v_add_f32_e32 v70, v135, v0
	v_sub_f32_e32 v71, v1, v134
	v_add_f32_e32 v113, v136, v131
	v_sub_f32_e32 v114, v125, v133
	v_sub_f32_e32 v126, v137, v132
	v_add_f32_e32 v127, v129, v130
	v_add_f32_e32 v128, v132, v137
	v_sub_f32_e32 v129, v130, v129
	v_sub_f32_e32 v130, v131, v136
	v_add_f32_e32 v131, v133, v125
	v_sub_f32_e32 v0, v0, v135
	v_add_f32_e32 v1, v134, v1
	ds_write2_b64 v117, v[55:56], v[57:58] offset0:26 offset1:52
	ds_write2_b64 v117, v[59:60], v[61:62] offset0:78 offset1:104
	;; [unrolled: 1-line block ×3, first 2 shown]
	v_lshl_add_u32 v125, v67, 3, v66
	ds_write2_b64 v117, v[51:52], v[53:54] offset1:13
	ds_write2_b64 v125, v[70:71], v[113:114] offset0:39 offset1:65
	ds_write2_b64 v125, v[126:127], v[128:129] offset0:91 offset1:117
	;; [unrolled: 1-line block ×3, first 2 shown]
	s_waitcnt lgkmcnt(0)
	; wave barrier
	s_waitcnt lgkmcnt(0)
	global_load_dwordx2 v[52:53], v[48:49], off offset:1456
	s_add_u32 s0, s2, 0x5b0
	s_addc_u32 s1, s3, 0
	global_load_dwordx2 v[56:57], v50, s[0:1] offset:112
	global_load_dwordx2 v[58:59], v50, s[0:1] offset:224
	;; [unrolled: 1-line block ×12, first 2 shown]
	ds_read2_b64 v[48:51], v117 offset1:14
	s_waitcnt vmcnt(12) lgkmcnt(0)
	v_mul_f32_e32 v54, v49, v53
	v_mul_f32_e32 v133, v48, v53
	v_fma_f32 v132, v48, v52, -v54
	v_fmac_f32_e32 v133, v49, v52
	ds_read2_b64 v[52:55], v117 offset0:28 offset1:42
	s_waitcnt vmcnt(11)
	v_mul_f32_e32 v48, v51, v57
	v_mul_f32_e32 v49, v50, v57
	v_fma_f32 v48, v50, v56, -v48
	v_fmac_f32_e32 v49, v51, v56
	ds_write2_b64 v117, v[132:133], v[48:49] offset1:14
	s_waitcnt vmcnt(10) lgkmcnt(1)
	v_mul_f32_e32 v48, v53, v59
	v_fma_f32 v56, v52, v58, -v48
	ds_read2_b64 v[48:51], v117 offset0:56 offset1:70
	v_mul_f32_e32 v57, v52, v59
	v_fmac_f32_e32 v57, v53, v58
	s_waitcnt vmcnt(9)
	v_mul_f32_e32 v52, v55, v61
	v_mul_f32_e32 v53, v54, v61
	v_fma_f32 v52, v54, v60, -v52
	v_fmac_f32_e32 v53, v55, v60
	ds_write2_b64 v117, v[56:57], v[52:53] offset0:28 offset1:42
	s_waitcnt vmcnt(8) lgkmcnt(1)
	v_mul_f32_e32 v52, v49, v63
	v_fma_f32 v56, v48, v62, -v52
	ds_read2_b64 v[52:55], v117 offset0:84 offset1:98
	v_mul_f32_e32 v57, v48, v63
	v_fmac_f32_e32 v57, v49, v62
	s_waitcnt vmcnt(7)
	v_mul_f32_e32 v48, v51, v65
	v_mul_f32_e32 v49, v50, v65
	v_fma_f32 v48, v50, v64, -v48
	v_fmac_f32_e32 v49, v51, v64
	ds_write2_b64 v117, v[56:57], v[48:49] offset0:56 offset1:70
	s_waitcnt vmcnt(6) lgkmcnt(1)
	v_mul_f32_e32 v48, v53, v67
	v_fma_f32 v56, v52, v66, -v48
	ds_read2_b64 v[48:51], v117 offset0:112 offset1:126
	v_mul_f32_e32 v57, v52, v67
	v_fmac_f32_e32 v57, v53, v66
	s_waitcnt vmcnt(5)
	v_mul_f32_e32 v52, v55, v69
	v_mul_f32_e32 v53, v54, v69
	v_fma_f32 v52, v54, v68, -v52
	v_fmac_f32_e32 v53, v55, v68
	ds_write2_b64 v117, v[56:57], v[52:53] offset0:84 offset1:98
	s_waitcnt vmcnt(4) lgkmcnt(1)
	v_mul_f32_e32 v52, v49, v71
	v_fma_f32 v56, v48, v70, -v52
	ds_read2_b64 v[52:55], v117 offset0:140 offset1:154
	v_mul_f32_e32 v57, v48, v71
	v_fmac_f32_e32 v57, v49, v70
	s_waitcnt vmcnt(3)
	v_mul_f32_e32 v48, v51, v114
	v_mul_f32_e32 v49, v50, v114
	v_fma_f32 v48, v50, v113, -v48
	v_fmac_f32_e32 v49, v51, v113
	ds_read_b64 v[50:51], v117 offset:1344
	ds_write2_b64 v117, v[56:57], v[48:49] offset0:112 offset1:126
	s_waitcnt vmcnt(2) lgkmcnt(2)
	v_mul_f32_e32 v48, v53, v127
	v_mul_f32_e32 v49, v52, v127
	v_fma_f32 v48, v52, v126, -v48
	v_fmac_f32_e32 v49, v53, v126
	s_waitcnt vmcnt(1)
	v_mul_f32_e32 v52, v55, v129
	v_mul_f32_e32 v53, v54, v129
	v_fma_f32 v52, v54, v128, -v52
	v_fmac_f32_e32 v53, v55, v128
	ds_write2_b64 v117, v[48:49], v[52:53] offset0:140 offset1:154
	s_waitcnt vmcnt(0) lgkmcnt(2)
	v_mul_f32_e32 v48, v51, v131
	v_mul_f32_e32 v49, v50, v131
	v_fma_f32 v48, v50, v130, -v48
	v_fmac_f32_e32 v49, v51, v130
	ds_write_b64 v117, v[48:49] offset:1344
	s_and_saveexec_b64 s[0:1], vcc
	s_cbranch_execz .LBB0_9
; %bb.8:
	ds_read2_b64 v[48:51], v115 offset0:13 offset1:27
	s_load_dwordx2 s[4:5], s[2:3], 0x618
	s_load_dwordx2 s[12:13], s[2:3], 0x688
	;; [unrolled: 1-line block ×4, first 2 shown]
	s_waitcnt lgkmcnt(0)
	v_mul_f32_e32 v52, s5, v49
	v_fma_f32 v56, v48, s4, -v52
	ds_read2_b64 v[52:55], v115 offset0:41 offset1:55
	v_mul_f32_e32 v57, s5, v48
	v_fmac_f32_e32 v57, s4, v49
	v_mul_f32_e32 v48, s13, v51
	v_mul_f32_e32 v49, s13, v50
	v_fma_f32 v48, v50, s12, -v48
	v_fmac_f32_e32 v49, s12, v51
	ds_write2_b64 v115, v[56:57], v[48:49] offset0:13 offset1:27
	s_waitcnt lgkmcnt(1)
	v_mul_f32_e32 v48, s15, v53
	v_fma_f32 v56, v52, s14, -v48
	v_mul_f32_e32 v48, s17, v55
	v_mul_f32_e32 v57, s15, v52
	v_fma_f32 v52, v54, s16, -v48
	ds_read2_b64 v[48:51], v115 offset0:69 offset1:83
	s_load_dwordx2 s[4:5], s[2:3], 0x7d8
	v_fmac_f32_e32 v57, s14, v53
	v_mul_f32_e32 v53, s17, v54
	v_fmac_f32_e32 v53, s16, v55
	ds_write2_b64 v115, v[56:57], v[52:53] offset0:41 offset1:55
	s_waitcnt lgkmcnt(0)
	v_mul_f32_e32 v52, s5, v49
	s_load_dwordx2 s[12:13], s[2:3], 0x848
	s_load_dwordx2 s[14:15], s[2:3], 0x8b8
	;; [unrolled: 1-line block ×3, first 2 shown]
	v_fma_f32 v56, v48, s4, -v52
	ds_read2_b64 v[52:55], v115 offset0:97 offset1:111
	v_mul_f32_e32 v57, s5, v48
	v_fmac_f32_e32 v57, s4, v49
	s_waitcnt lgkmcnt(0)
	v_mul_f32_e32 v48, s13, v51
	v_mul_f32_e32 v49, s13, v50
	v_fma_f32 v48, v50, s12, -v48
	v_fmac_f32_e32 v49, s12, v51
	ds_write2_b64 v115, v[56:57], v[48:49] offset0:69 offset1:83
	v_mul_f32_e32 v48, s15, v53
	v_fma_f32 v56, v52, s14, -v48
	v_mul_f32_e32 v48, s17, v55
	v_mul_f32_e32 v57, s15, v52
	v_fma_f32 v52, v54, s16, -v48
	ds_read2_b64 v[48:51], v115 offset0:125 offset1:139
	s_load_dwordx2 s[4:5], s[2:3], 0x998
	v_fmac_f32_e32 v57, s14, v53
	v_mul_f32_e32 v53, s17, v54
	v_fmac_f32_e32 v53, s16, v55
	ds_write2_b64 v115, v[56:57], v[52:53] offset0:97 offset1:111
	s_load_dwordx2 s[12:13], s[2:3], 0xa08
	s_load_dwordx2 s[14:15], s[2:3], 0xa78
	;; [unrolled: 1-line block ×3, first 2 shown]
	s_waitcnt lgkmcnt(0)
	v_mul_f32_e32 v52, s5, v49
	v_fma_f32 v56, v48, s4, -v52
	ds_read2_b64 v[52:55], v115 offset0:153 offset1:167
	v_mul_f32_e32 v57, s5, v48
	v_fmac_f32_e32 v57, s4, v49
	v_mul_f32_e32 v48, s13, v51
	v_mul_f32_e32 v49, s13, v50
	v_fma_f32 v48, v50, s12, -v48
	v_fmac_f32_e32 v49, s12, v51
	ds_read_b64 v[50:51], v115 offset:1448
	s_load_dwordx2 s[4:5], s[2:3], 0xb58
	ds_write2_b64 v115, v[56:57], v[48:49] offset0:125 offset1:139
	s_waitcnt lgkmcnt(0)
	v_mul_f32_e32 v48, s15, v53
	v_mul_f32_e32 v49, s15, v52
	v_fma_f32 v48, v52, s14, -v48
	v_fmac_f32_e32 v49, s14, v53
	v_mul_f32_e32 v52, s17, v55
	v_mul_f32_e32 v53, s17, v54
	v_fma_f32 v52, v54, s16, -v52
	v_fmac_f32_e32 v53, s16, v55
	ds_write2_b64 v115, v[48:49], v[52:53] offset0:153 offset1:167
	v_mul_f32_e32 v48, s5, v51
	v_mul_f32_e32 v49, s5, v50
	v_fma_f32 v48, v50, s4, -v48
	v_fmac_f32_e32 v49, s4, v51
	ds_write_b64 v115, v[48:49] offset:1448
.LBB0_9:
	s_or_b64 exec, exec, s[0:1]
	s_waitcnt lgkmcnt(0)
	; wave barrier
	s_waitcnt lgkmcnt(0)
	ds_read2_b64 v[68:71], v117 offset1:14
	ds_read2_b64 v[60:63], v117 offset0:28 offset1:42
	ds_read2_b64 v[52:55], v117 offset0:56 offset1:70
	;; [unrolled: 1-line block ×5, first 2 shown]
	ds_read_b64 v[113:114], v117 offset:1344
	s_and_saveexec_b64 s[0:1], vcc
	s_cbranch_execz .LBB0_11
; %bb.10:
	ds_read2_b64 v[0:3], v115 offset0:13 offset1:27
	ds_read2_b64 v[12:15], v115 offset0:41 offset1:55
	;; [unrolled: 1-line block ×6, first 2 shown]
	ds_read_b64 v[111:112], v115 offset:1448
.LBB0_11:
	s_or_b64 exec, exec, s[0:1]
	s_waitcnt lgkmcnt(6)
	v_add_f32_e32 v126, v68, v70
	v_add_f32_e32 v127, v69, v71
	s_waitcnt lgkmcnt(5)
	v_add_f32_e32 v126, v126, v60
	v_add_f32_e32 v127, v127, v61
	v_add_f32_e32 v126, v126, v62
	v_add_f32_e32 v127, v127, v63
	s_waitcnt lgkmcnt(4)
	v_add_f32_e32 v126, v126, v52
	v_add_f32_e32 v127, v127, v53
	;; [unrolled: 5-line block ×5, first 2 shown]
	v_add_f32_e32 v126, v126, v66
	s_waitcnt lgkmcnt(0)
	v_add_f32_e32 v129, v114, v71
	v_sub_f32_e32 v71, v71, v114
	v_add_f32_e32 v127, v127, v67
	v_add_f32_e32 v126, v126, v113
	;; [unrolled: 1-line block ×3, first 2 shown]
	v_sub_f32_e32 v70, v70, v113
	v_mul_f32_e32 v113, 0xbeedf032, v71
	v_mul_f32_e32 v132, 0xbf52af12, v71
	v_mul_f32_e32 v136, 0xbf7e222b, v71
	v_mul_f32_e32 v140, 0xbf6f5d39, v71
	v_mul_f32_e32 v144, 0xbf29c268, v71
	v_mul_f32_e32 v71, 0xbe750f2a, v71
	v_add_f32_e32 v127, v127, v114
	s_mov_b32 s4, 0x3f62ad3f
	v_mov_b32_e32 v114, v113
	s_mov_b32 s5, 0x3f116cb1
	v_mov_b32_e32 v133, v132
	;; [unrolled: 2-line block ×6, first 2 shown]
	v_fmac_f32_e32 v114, 0x3f62ad3f, v128
	v_mul_f32_e32 v130, 0x3f62ad3f, v129
	v_fma_f32 v113, v128, s4, -v113
	v_fmac_f32_e32 v133, 0x3f116cb1, v128
	v_mul_f32_e32 v134, 0x3f116cb1, v129
	v_fma_f32 v132, v128, s5, -v132
	;; [unrolled: 3-line block ×6, first 2 shown]
	v_add_f32_e32 v114, v68, v114
	v_mov_b32_e32 v131, v130
	v_add_f32_e32 v113, v68, v113
	v_add_f32_e32 v133, v68, v133
	v_mov_b32_e32 v135, v134
	v_add_f32_e32 v132, v68, v132
	;; [unrolled: 3-line block ×6, first 2 shown]
	v_add_f32_e32 v71, v67, v61
	v_sub_f32_e32 v61, v61, v67
	v_fmac_f32_e32 v131, 0x3eedf032, v70
	v_fmac_f32_e32 v130, 0xbeedf032, v70
	;; [unrolled: 1-line block ×12, first 2 shown]
	v_add_f32_e32 v70, v66, v60
	v_sub_f32_e32 v60, v60, v66
	v_mul_f32_e32 v66, 0xbf52af12, v61
	v_mov_b32_e32 v67, v66
	v_fmac_f32_e32 v67, 0x3f116cb1, v70
	v_add_f32_e32 v67, v67, v114
	v_mul_f32_e32 v114, 0x3f116cb1, v71
	v_add_f32_e32 v130, v69, v130
	v_mov_b32_e32 v128, v114
	v_fma_f32 v66, v70, s5, -v66
	v_fmac_f32_e32 v114, 0xbf52af12, v60
	v_add_f32_e32 v66, v66, v113
	v_add_f32_e32 v113, v114, v130
	v_mul_f32_e32 v114, 0xbf6f5d39, v61
	v_add_f32_e32 v131, v69, v131
	v_add_f32_e32 v135, v69, v135
	;; [unrolled: 1-line block ×11, first 2 shown]
	v_mov_b32_e32 v129, v114
	v_fma_f32 v114, v70, s13, -v114
	v_fmac_f32_e32 v128, 0x3f52af12, v60
	v_fmac_f32_e32 v129, 0xbeb58ec6, v70
	v_mul_f32_e32 v130, 0xbeb58ec6, v71
	v_add_f32_e32 v114, v114, v132
	v_mul_f32_e32 v132, 0xbe750f2a, v61
	v_add_f32_e32 v128, v128, v131
	v_add_f32_e32 v129, v129, v133
	v_mov_b32_e32 v131, v130
	v_fmac_f32_e32 v130, 0xbf6f5d39, v60
	v_mov_b32_e32 v133, v132
	v_fma_f32 v132, v70, s15, -v132
	v_fmac_f32_e32 v131, 0x3f6f5d39, v60
	v_add_f32_e32 v130, v130, v134
	v_fmac_f32_e32 v133, 0xbf788fa5, v70
	v_mul_f32_e32 v134, 0xbf788fa5, v71
	v_add_f32_e32 v132, v132, v136
	v_mul_f32_e32 v136, 0x3f29c268, v61
	v_add_f32_e32 v131, v131, v135
	v_add_f32_e32 v133, v133, v137
	v_mov_b32_e32 v135, v134
	v_fmac_f32_e32 v134, 0xbe750f2a, v60
	v_mov_b32_e32 v137, v136
	v_fma_f32 v136, v70, s14, -v136
	v_fmac_f32_e32 v135, 0x3e750f2a, v60
	v_add_f32_e32 v134, v134, v138
	v_fmac_f32_e32 v137, 0xbf3f9e67, v70
	v_mul_f32_e32 v138, 0xbf3f9e67, v71
	v_add_f32_e32 v136, v136, v140
	v_mul_f32_e32 v140, 0x3f7e222b, v61
	v_add_f32_e32 v135, v135, v139
	v_add_f32_e32 v137, v137, v141
	v_mov_b32_e32 v139, v138
	v_fmac_f32_e32 v138, 0x3f29c268, v60
	v_mov_b32_e32 v141, v140
	v_fmac_f32_e32 v139, 0xbf29c268, v60
	v_add_f32_e32 v138, v138, v142
	v_fmac_f32_e32 v141, 0x3df6dbef, v70
	v_mul_f32_e32 v142, 0x3df6dbef, v71
	v_mul_f32_e32 v71, 0x3f62ad3f, v71
	v_add_f32_e32 v139, v139, v143
	v_add_f32_e32 v141, v141, v145
	v_mov_b32_e32 v143, v142
	v_fma_f32 v140, v70, s12, -v140
	v_mul_f32_e32 v61, 0x3eedf032, v61
	v_mov_b32_e32 v145, v71
	v_fmac_f32_e32 v71, 0x3eedf032, v60
	v_fmac_f32_e32 v143, 0xbf7e222b, v60
	v_add_f32_e32 v140, v140, v144
	v_fmac_f32_e32 v142, 0x3f7e222b, v60
	v_mov_b32_e32 v144, v61
	v_fmac_f32_e32 v145, 0xbeedf032, v60
	v_fma_f32 v61, v70, s4, -v61
	v_add_f32_e32 v60, v71, v69
	v_add_f32_e32 v69, v65, v63
	v_sub_f32_e32 v63, v63, v65
	v_add_f32_e32 v61, v61, v68
	v_add_f32_e32 v68, v64, v62
	v_sub_f32_e32 v62, v62, v64
	v_mul_f32_e32 v64, 0xbf7e222b, v63
	v_mov_b32_e32 v65, v64
	v_fmac_f32_e32 v65, 0x3df6dbef, v68
	v_add_f32_e32 v65, v65, v67
	v_mul_f32_e32 v67, 0x3df6dbef, v69
	v_fmac_f32_e32 v144, 0x3f62ad3f, v70
	v_mov_b32_e32 v70, v67
	v_fma_f32 v64, v68, s12, -v64
	v_fmac_f32_e32 v67, 0xbf7e222b, v62
	v_add_f32_e32 v64, v64, v66
	v_add_f32_e32 v66, v67, v113
	v_mul_f32_e32 v67, 0xbe750f2a, v63
	v_mov_b32_e32 v71, v67
	v_fma_f32 v67, v68, s15, -v67
	v_fmac_f32_e32 v70, 0x3f7e222b, v62
	v_fmac_f32_e32 v71, 0xbf788fa5, v68
	v_mul_f32_e32 v113, 0xbf788fa5, v69
	v_add_f32_e32 v67, v67, v114
	v_mul_f32_e32 v114, 0x3f6f5d39, v63
	v_add_f32_e32 v70, v70, v128
	v_add_f32_e32 v71, v71, v129
	v_mov_b32_e32 v128, v113
	v_fmac_f32_e32 v113, 0xbe750f2a, v62
	v_mov_b32_e32 v129, v114
	v_fma_f32 v114, v68, s13, -v114
	v_fmac_f32_e32 v128, 0x3e750f2a, v62
	v_add_f32_e32 v113, v113, v130
	v_fmac_f32_e32 v129, 0xbeb58ec6, v68
	v_mul_f32_e32 v130, 0xbeb58ec6, v69
	v_add_f32_e32 v114, v114, v132
	v_mul_f32_e32 v132, 0x3eedf032, v63
	v_add_f32_e32 v128, v128, v131
	v_add_f32_e32 v129, v129, v133
	v_mov_b32_e32 v131, v130
	v_fmac_f32_e32 v130, 0x3f6f5d39, v62
	v_mov_b32_e32 v133, v132
	v_fma_f32 v132, v68, s4, -v132
	v_fmac_f32_e32 v131, 0xbf6f5d39, v62
	v_add_f32_e32 v130, v130, v134
	v_fmac_f32_e32 v133, 0x3f62ad3f, v68
	v_mul_f32_e32 v134, 0x3f62ad3f, v69
	v_add_f32_e32 v132, v132, v136
	v_mul_f32_e32 v136, 0xbf52af12, v63
	v_add_f32_e32 v131, v131, v135
	v_add_f32_e32 v133, v133, v137
	v_mov_b32_e32 v135, v134
	v_fmac_f32_e32 v134, 0x3eedf032, v62
	v_mov_b32_e32 v137, v136
	v_fma_f32 v136, v68, s5, -v136
	v_mul_f32_e32 v63, 0xbf29c268, v63
	v_fmac_f32_e32 v135, 0xbeedf032, v62
	v_add_f32_e32 v134, v134, v138
	v_fmac_f32_e32 v137, 0x3f116cb1, v68
	v_mul_f32_e32 v138, 0x3f116cb1, v69
	v_add_f32_e32 v136, v136, v140
	v_mov_b32_e32 v140, v63
	v_mul_f32_e32 v69, 0xbf3f9e67, v69
	v_fma_f32 v63, v68, s14, -v63
	v_add_f32_e32 v135, v135, v139
	v_add_f32_e32 v137, v137, v141
	v_mov_b32_e32 v139, v138
	v_mov_b32_e32 v141, v69
	v_add_f32_e32 v61, v63, v61
	v_add_f32_e32 v63, v59, v53
	v_sub_f32_e32 v53, v53, v59
	v_fmac_f32_e32 v139, 0x3f52af12, v62
	v_fmac_f32_e32 v138, 0xbf52af12, v62
	;; [unrolled: 1-line block ×4, first 2 shown]
	v_add_f32_e32 v62, v58, v52
	v_sub_f32_e32 v52, v52, v58
	v_mul_f32_e32 v58, 0xbf6f5d39, v53
	v_mov_b32_e32 v59, v58
	v_fmac_f32_e32 v59, 0xbeb58ec6, v62
	v_add_f32_e32 v59, v59, v65
	v_mul_f32_e32 v65, 0xbeb58ec6, v63
	v_fmac_f32_e32 v140, 0xbf3f9e67, v68
	v_mov_b32_e32 v68, v65
	v_fma_f32 v58, v62, s13, -v58
	v_fmac_f32_e32 v65, 0xbf6f5d39, v52
	v_add_f32_e32 v60, v69, v60
	v_fmac_f32_e32 v68, 0x3f6f5d39, v52
	v_add_f32_e32 v58, v58, v64
	v_add_f32_e32 v64, v65, v66
	v_mul_f32_e32 v65, 0x3f29c268, v53
	v_mul_f32_e32 v69, 0xbf3f9e67, v63
	v_add_f32_e32 v68, v68, v70
	v_mov_b32_e32 v66, v65
	v_mov_b32_e32 v70, v69
	v_fma_f32 v65, v62, s14, -v65
	v_fmac_f32_e32 v69, 0x3f29c268, v52
	v_fmac_f32_e32 v66, 0xbf3f9e67, v62
	v_add_f32_e32 v65, v65, v67
	v_add_f32_e32 v67, v69, v113
	v_mul_f32_e32 v69, 0x3eedf032, v53
	v_add_f32_e32 v66, v66, v71
	v_mov_b32_e32 v71, v69
	v_fma_f32 v69, v62, s4, -v69
	v_fmac_f32_e32 v70, 0xbf29c268, v52
	v_fmac_f32_e32 v71, 0x3f62ad3f, v62
	v_mul_f32_e32 v113, 0x3f62ad3f, v63
	v_add_f32_e32 v69, v69, v114
	v_mul_f32_e32 v114, 0xbf7e222b, v53
	v_add_f32_e32 v70, v70, v128
	v_add_f32_e32 v71, v71, v129
	v_mov_b32_e32 v128, v113
	v_fmac_f32_e32 v113, 0x3eedf032, v52
	v_mov_b32_e32 v129, v114
	v_fma_f32 v114, v62, s12, -v114
	v_fmac_f32_e32 v128, 0xbeedf032, v52
	v_add_f32_e32 v113, v113, v130
	v_fmac_f32_e32 v129, 0x3df6dbef, v62
	v_mul_f32_e32 v130, 0x3df6dbef, v63
	v_add_f32_e32 v114, v114, v132
	v_mul_f32_e32 v132, 0x3e750f2a, v53
	v_add_f32_e32 v128, v128, v131
	v_add_f32_e32 v129, v129, v133
	v_mov_b32_e32 v131, v130
	v_fmac_f32_e32 v130, 0xbf7e222b, v52
	v_mov_b32_e32 v133, v132
	v_fma_f32 v132, v62, s15, -v132
	v_mul_f32_e32 v53, 0x3f52af12, v53
	v_fmac_f32_e32 v131, 0x3f7e222b, v52
	v_add_f32_e32 v130, v130, v134
	v_fmac_f32_e32 v133, 0xbf788fa5, v62
	v_mul_f32_e32 v134, 0xbf788fa5, v63
	v_add_f32_e32 v132, v132, v136
	v_mov_b32_e32 v136, v53
	v_mul_f32_e32 v63, 0x3f116cb1, v63
	v_fma_f32 v53, v62, s5, -v53
	v_add_f32_e32 v131, v131, v135
	v_add_f32_e32 v133, v133, v137
	v_mov_b32_e32 v135, v134
	v_mov_b32_e32 v137, v63
	v_add_f32_e32 v53, v53, v61
	v_fmac_f32_e32 v63, 0x3f52af12, v52
	v_add_f32_e32 v61, v57, v55
	v_sub_f32_e32 v55, v55, v57
	v_fmac_f32_e32 v135, 0xbe750f2a, v52
	v_fmac_f32_e32 v134, 0x3e750f2a, v52
	;; [unrolled: 1-line block ×3, first 2 shown]
	v_add_f32_e32 v52, v63, v60
	v_add_f32_e32 v60, v56, v54
	v_sub_f32_e32 v54, v54, v56
	v_mul_f32_e32 v56, 0xbf29c268, v55
	v_mov_b32_e32 v57, v56
	v_fmac_f32_e32 v57, 0xbf3f9e67, v60
	v_add_f32_e32 v57, v57, v59
	v_mul_f32_e32 v59, 0xbf3f9e67, v61
	v_fmac_f32_e32 v136, 0x3f116cb1, v62
	v_mov_b32_e32 v62, v59
	v_fma_f32 v56, v60, s14, -v56
	v_fmac_f32_e32 v59, 0xbf29c268, v54
	v_add_f32_e32 v56, v56, v58
	v_add_f32_e32 v58, v59, v64
	v_mul_f32_e32 v59, 0x3f7e222b, v55
	v_mov_b32_e32 v63, v59
	v_fmac_f32_e32 v63, 0x3df6dbef, v60
	v_mul_f32_e32 v64, 0x3df6dbef, v61
	v_fma_f32 v59, v60, s12, -v59
	v_add_f32_e32 v63, v63, v66
	v_mov_b32_e32 v66, v64
	v_add_f32_e32 v59, v59, v65
	v_fmac_f32_e32 v64, 0x3f7e222b, v54
	v_mul_f32_e32 v65, 0xbf52af12, v55
	v_fmac_f32_e32 v62, 0x3f29c268, v54
	v_add_f32_e32 v64, v64, v67
	v_mov_b32_e32 v67, v65
	v_fma_f32 v65, v60, s5, -v65
	v_add_f32_e32 v62, v62, v68
	v_fmac_f32_e32 v66, 0xbf7e222b, v54
	v_fmac_f32_e32 v67, 0x3f116cb1, v60
	v_mul_f32_e32 v68, 0x3f116cb1, v61
	v_add_f32_e32 v65, v65, v69
	v_mul_f32_e32 v69, 0x3e750f2a, v55
	v_add_f32_e32 v66, v66, v70
	v_add_f32_e32 v67, v67, v71
	v_mov_b32_e32 v70, v68
	v_fmac_f32_e32 v68, 0xbf52af12, v54
	v_mov_b32_e32 v71, v69
	v_fma_f32 v69, v60, s15, -v69
	v_fmac_f32_e32 v70, 0x3f52af12, v54
	v_add_f32_e32 v68, v68, v113
	v_fmac_f32_e32 v71, 0xbf788fa5, v60
	v_mul_f32_e32 v113, 0xbf788fa5, v61
	v_add_f32_e32 v69, v69, v114
	v_mul_f32_e32 v114, 0x3eedf032, v55
	v_add_f32_e32 v70, v70, v128
	v_add_f32_e32 v71, v71, v129
	v_mov_b32_e32 v128, v113
	v_fmac_f32_e32 v113, 0x3e750f2a, v54
	v_mov_b32_e32 v129, v114
	v_add_f32_e32 v145, v145, v149
	v_add_f32_e32 v113, v113, v130
	v_fmac_f32_e32 v129, 0x3f62ad3f, v60
	v_mul_f32_e32 v130, 0x3f62ad3f, v61
	v_mul_f32_e32 v61, 0xbeb58ec6, v61
	v_add_f32_e32 v141, v141, v145
	v_add_f32_e32 v129, v129, v133
	v_mov_b32_e32 v133, v61
	v_add_f32_e32 v143, v143, v147
	v_add_f32_e32 v144, v144, v148
	;; [unrolled: 1-line block ×3, first 2 shown]
	v_fma_f32 v114, v60, s4, -v114
	v_mul_f32_e32 v55, 0xbf6f5d39, v55
	v_fmac_f32_e32 v133, 0x3f6f5d39, v54
	v_add_f32_e32 v142, v142, v146
	v_add_f32_e32 v139, v139, v143
	;; [unrolled: 1-line block ×3, first 2 shown]
	v_fmac_f32_e32 v128, 0xbe750f2a, v54
	v_add_f32_e32 v114, v114, v132
	v_mov_b32_e32 v132, v55
	v_add_f32_e32 v133, v133, v137
	v_add_f32_e32 v137, v51, v49
	;; [unrolled: 1-line block ×6, first 2 shown]
	v_mov_b32_e32 v131, v130
	v_fmac_f32_e32 v132, 0xbeb58ec6, v60
	v_sub_f32_e32 v139, v49, v51
	v_mul_f32_e32 v51, 0xbf788fa5, v137
	v_add_f32_e32 v134, v134, v138
	v_fmac_f32_e32 v131, 0xbeedf032, v54
	v_fmac_f32_e32 v130, 0x3eedf032, v54
	v_add_f32_e32 v132, v132, v136
	v_fmac_f32_e32 v61, 0xbf6f5d39, v54
	v_add_f32_e32 v136, v50, v48
	v_sub_f32_e32 v138, v48, v50
	v_mul_f32_e32 v50, 0xbe750f2a, v139
	v_mov_b32_e32 v49, v51
	v_mul_f32_e32 v54, 0x3eedf032, v139
	v_add_f32_e32 v131, v131, v135
	v_fma_f32 v55, v60, s13, -v55
	v_add_f32_e32 v135, v61, v52
	v_mov_b32_e32 v48, v50
	v_fmac_f32_e32 v49, 0x3e750f2a, v138
	v_fmac_f32_e32 v51, 0xbe750f2a, v138
	v_mov_b32_e32 v52, v54
	v_fma_f32 v54, v136, s4, -v54
	v_add_f32_e32 v130, v130, v134
	v_add_f32_e32 v134, v55, v53
	v_fmac_f32_e32 v48, 0xbf788fa5, v136
	v_add_f32_e32 v49, v49, v62
	v_fma_f32 v50, v136, s15, -v50
	v_add_f32_e32 v51, v51, v58
	v_mul_f32_e32 v55, 0x3f62ad3f, v137
	v_add_f32_e32 v54, v54, v59
	v_mul_f32_e32 v58, 0xbf29c268, v139
	v_mul_f32_e32 v59, 0xbf3f9e67, v137
	v_mul_f32_e32 v62, 0x3f52af12, v139
	v_add_f32_e32 v48, v48, v57
	v_add_f32_e32 v50, v50, v56
	v_mov_b32_e32 v53, v55
	v_mov_b32_e32 v56, v58
	v_mov_b32_e32 v57, v59
	v_mov_b32_e32 v60, v62
	v_fmac_f32_e32 v52, 0x3f62ad3f, v136
	v_fmac_f32_e32 v53, 0xbeedf032, v138
	;; [unrolled: 1-line block ×5, first 2 shown]
	v_add_f32_e32 v52, v52, v63
	v_add_f32_e32 v53, v53, v66
	v_fmac_f32_e32 v55, 0x3eedf032, v138
	v_add_f32_e32 v56, v56, v67
	v_add_f32_e32 v57, v57, v70
	v_fma_f32 v58, v136, s14, -v58
	v_fmac_f32_e32 v59, 0xbf29c268, v138
	v_add_f32_e32 v60, v60, v71
	v_mul_f32_e32 v63, 0x3f116cb1, v137
	v_fma_f32 v62, v136, s5, -v62
	v_mul_f32_e32 v66, 0xbf6f5d39, v139
	v_mul_f32_e32 v67, 0xbeb58ec6, v137
	;; [unrolled: 1-line block ×4, first 2 shown]
	v_add_f32_e32 v55, v55, v64
	v_add_f32_e32 v58, v58, v65
	;; [unrolled: 1-line block ×3, first 2 shown]
	v_mov_b32_e32 v61, v63
	v_add_f32_e32 v62, v62, v69
	v_mov_b32_e32 v64, v66
	v_mov_b32_e32 v65, v67
	;; [unrolled: 1-line block ×4, first 2 shown]
	v_add_u32_e32 v125, 0x68, v125
	v_fmac_f32_e32 v61, 0xbf52af12, v138
	v_fmac_f32_e32 v63, 0x3f52af12, v138
	;; [unrolled: 1-line block ×4, first 2 shown]
	v_fma_f32 v66, v136, s13, -v66
	v_fmac_f32_e32 v67, 0xbf6f5d39, v138
	v_fmac_f32_e32 v68, 0x3df6dbef, v136
	;; [unrolled: 1-line block ×3, first 2 shown]
	v_fma_f32 v70, v136, s12, -v70
	v_fmac_f32_e32 v71, 0x3f7e222b, v138
	v_add_f32_e32 v61, v61, v128
	v_add_f32_e32 v63, v63, v113
	;; [unrolled: 1-line block ×10, first 2 shown]
	s_waitcnt lgkmcnt(0)
	; wave barrier
	ds_write2_b64 v124, v[126:127], v[48:49] offset1:1
	ds_write2_b64 v124, v[52:53], v[56:57] offset0:2 offset1:3
	ds_write2_b64 v124, v[60:61], v[64:65] offset0:4 offset1:5
	;; [unrolled: 1-line block ×5, first 2 shown]
	ds_write_b64 v124, v[50:51] offset:96
	s_and_saveexec_b64 s[0:1], vcc
	s_cbranch_execz .LBB0_13
; %bb.12:
	v_add_f32_e32 v58, v112, v3
	v_mul_f32_e32 v60, 0xbf788fa5, v58
	v_add_f32_e32 v59, v35, v13
	v_sub_f32_e32 v61, v2, v111
	v_mov_b32_e32 v48, v60
	v_mul_f32_e32 v62, 0x3f62ad3f, v59
	v_fmac_f32_e32 v48, 0x3e750f2a, v61
	v_sub_f32_e32 v63, v12, v34
	v_mov_b32_e32 v49, v62
	v_add_f32_e32 v64, v33, v15
	v_add_f32_e32 v48, v1, v48
	v_fmac_f32_e32 v49, 0xbeedf032, v63
	v_mul_f32_e32 v65, 0xbf3f9e67, v64
	v_add_f32_e32 v48, v49, v48
	v_sub_f32_e32 v66, v14, v32
	v_mov_b32_e32 v49, v65
	v_add_f32_e32 v67, v43, v37
	v_fmac_f32_e32 v49, 0x3f29c268, v66
	v_mul_f32_e32 v68, 0x3f116cb1, v67
	v_add_f32_e32 v48, v49, v48
	v_sub_f32_e32 v69, v36, v42
	v_mov_b32_e32 v49, v68
	;; [unrolled: 6-line block ×4, first 2 shown]
	v_sub_f32_e32 v128, v3, v112
	v_fmac_f32_e32 v49, 0xbf7e222b, v126
	v_mul_f32_e32 v129, 0xbe750f2a, v128
	v_sub_f32_e32 v131, v13, v35
	v_add_f32_e32 v49, v49, v48
	v_add_f32_e32 v127, v111, v2
	v_mov_b32_e32 v48, v129
	v_mul_f32_e32 v132, 0x3eedf032, v131
	v_fmac_f32_e32 v48, 0xbf788fa5, v127
	v_add_f32_e32 v130, v34, v12
	v_mov_b32_e32 v50, v132
	v_sub_f32_e32 v134, v15, v33
	v_add_f32_e32 v48, v0, v48
	v_fmac_f32_e32 v50, 0x3f62ad3f, v130
	v_mul_f32_e32 v135, 0xbf29c268, v134
	v_add_f32_e32 v48, v50, v48
	v_add_f32_e32 v133, v32, v14
	v_mov_b32_e32 v50, v135
	v_sub_f32_e32 v137, v37, v43
	v_fmac_f32_e32 v50, 0xbf3f9e67, v133
	v_mul_f32_e32 v138, 0x3f52af12, v137
	v_add_f32_e32 v48, v50, v48
	v_add_f32_e32 v136, v42, v36
	v_mov_b32_e32 v50, v138
	v_sub_f32_e32 v140, v39, v41
	v_fmac_f32_e32 v50, 0x3f116cb1, v136
	v_mul_f32_e32 v141, 0xbf6f5d39, v140
	v_add_f32_e32 v48, v50, v48
	v_add_f32_e32 v139, v40, v38
	v_mov_b32_e32 v50, v141
	v_sub_f32_e32 v143, v45, v47
	v_fmac_f32_e32 v50, 0xbeb58ec6, v139
	v_mul_f32_e32 v144, 0x3f7e222b, v143
	v_add_f32_e32 v48, v50, v48
	v_add_f32_e32 v142, v46, v44
	v_mov_b32_e32 v50, v144
	v_fmac_f32_e32 v50, 0x3df6dbef, v142
	v_mul_f32_e32 v145, 0xbf3f9e67, v58
	v_add_f32_e32 v48, v50, v48
	v_mov_b32_e32 v50, v145
	v_mul_f32_e32 v146, 0x3df6dbef, v59
	v_fmac_f32_e32 v50, 0x3f29c268, v61
	v_mov_b32_e32 v51, v146
	v_add_f32_e32 v50, v1, v50
	v_fmac_f32_e32 v51, 0xbf7e222b, v63
	v_mul_f32_e32 v147, 0x3f116cb1, v64
	v_add_f32_e32 v50, v51, v50
	v_mov_b32_e32 v51, v147
	v_fmac_f32_e32 v51, 0x3f52af12, v66
	v_mul_f32_e32 v148, 0xbf788fa5, v67
	v_add_f32_e32 v50, v51, v50
	v_mov_b32_e32 v51, v148
	v_fmac_f32_e32 v51, 0xbe750f2a, v69
	v_mul_f32_e32 v149, 0x3f62ad3f, v70
	v_add_f32_e32 v50, v51, v50
	v_mov_b32_e32 v51, v149
	v_fmac_f32_e32 v51, 0xbeedf032, v113
	v_mul_f32_e32 v150, 0xbeb58ec6, v114
	v_add_f32_e32 v50, v51, v50
	v_mov_b32_e32 v51, v150
	v_fmac_f32_e32 v51, 0x3f6f5d39, v126
	v_mul_f32_e32 v151, 0xbf29c268, v128
	v_add_f32_e32 v51, v51, v50
	v_mov_b32_e32 v50, v151
	v_mul_f32_e32 v152, 0x3f7e222b, v131
	v_fmac_f32_e32 v50, 0xbf3f9e67, v127
	v_mov_b32_e32 v52, v152
	v_add_f32_e32 v50, v0, v50
	v_fmac_f32_e32 v52, 0x3df6dbef, v130
	v_mul_f32_e32 v153, 0xbf52af12, v134
	v_add_f32_e32 v50, v52, v50
	v_mov_b32_e32 v52, v153
	v_fmac_f32_e32 v52, 0x3f116cb1, v133
	v_mul_f32_e32 v154, 0x3e750f2a, v137
	v_add_f32_e32 v50, v52, v50
	v_mov_b32_e32 v52, v154
	v_fmac_f32_e32 v52, 0xbf788fa5, v136
	v_mul_f32_e32 v155, 0x3eedf032, v140
	v_add_f32_e32 v50, v52, v50
	v_mov_b32_e32 v52, v155
	v_fmac_f32_e32 v52, 0x3f62ad3f, v139
	v_mul_f32_e32 v156, 0xbf6f5d39, v143
	;; [unrolled: 24-line block ×5, first 2 shown]
	v_add_f32_e32 v54, v55, v54
	v_mov_b32_e32 v55, v174
	v_fmac_f32_e32 v55, 0x3f29c268, v126
	v_mul_f32_e32 v175, 0xbf7e222b, v128
	v_add_f32_e32 v2, v2, v0
	v_fmac_f32_e32 v60, 0xbe750f2a, v61
	v_add_f32_e32 v55, v55, v54
	v_mov_b32_e32 v54, v175
	v_mul_f32_e32 v176, 0xbe750f2a, v131
	v_add_f32_e32 v2, v12, v2
	v_add_f32_e32 v12, v1, v60
	v_fmac_f32_e32 v62, 0x3eedf032, v63
	v_fmac_f32_e32 v54, 0x3df6dbef, v127
	v_mov_b32_e32 v56, v176
	v_add_f32_e32 v12, v62, v12
	v_fmac_f32_e32 v65, 0xbf29c268, v66
	v_add_f32_e32 v54, v0, v54
	v_fmac_f32_e32 v56, 0xbf788fa5, v130
	v_mul_f32_e32 v177, 0x3f6f5d39, v134
	v_add_f32_e32 v12, v65, v12
	v_fmac_f32_e32 v68, 0x3f52af12, v69
	v_add_f32_e32 v54, v56, v54
	v_mov_b32_e32 v56, v177
	v_add_f32_e32 v12, v68, v12
	v_fmac_f32_e32 v71, 0xbf6f5d39, v113
	v_fmac_f32_e32 v56, 0xbeb58ec6, v133
	v_mul_f32_e32 v178, 0x3eedf032, v137
	v_add_f32_e32 v3, v3, v1
	v_add_f32_e32 v12, v71, v12
	v_fmac_f32_e32 v124, 0x3f7e222b, v126
	v_add_f32_e32 v54, v56, v54
	v_mov_b32_e32 v56, v178
	v_add_f32_e32 v3, v13, v3
	v_add_f32_e32 v13, v124, v12
	v_fma_f32 v12, v127, s15, -v129
	v_fmac_f32_e32 v56, 0x3f62ad3f, v136
	v_mul_f32_e32 v179, 0xbf52af12, v140
	v_add_f32_e32 v2, v14, v2
	v_add_f32_e32 v12, v0, v12
	v_fma_f32 v14, v130, s4, -v132
	v_add_f32_e32 v54, v56, v54
	v_mov_b32_e32 v56, v179
	v_add_f32_e32 v12, v14, v12
	v_fma_f32 v14, v133, s14, -v135
	v_fmac_f32_e32 v56, 0x3f116cb1, v139
	v_mul_f32_e32 v180, 0xbf29c268, v143
	v_add_f32_e32 v12, v14, v12
	v_fma_f32 v14, v136, s5, -v138
	v_add_f32_e32 v54, v56, v54
	v_mov_b32_e32 v56, v180
	v_add_f32_e32 v12, v14, v12
	v_fma_f32 v14, v139, s13, -v141
	v_fmac_f32_e32 v56, 0xbf3f9e67, v142
	v_mul_f32_e32 v181, 0x3f116cb1, v58
	v_add_f32_e32 v12, v14, v12
	v_fma_f32 v14, v142, s12, -v144
	v_fmac_f32_e32 v145, 0xbf29c268, v61
	v_add_f32_e32 v54, v56, v54
	v_mov_b32_e32 v56, v181
	v_mul_f32_e32 v182, 0xbeb58ec6, v59
	v_add_f32_e32 v2, v36, v2
	v_add_f32_e32 v12, v14, v12
	;; [unrolled: 1-line block ×3, first 2 shown]
	v_fmac_f32_e32 v146, 0x3f7e222b, v63
	v_fmac_f32_e32 v56, 0x3f52af12, v61
	v_mov_b32_e32 v57, v182
	v_add_f32_e32 v2, v38, v2
	v_add_f32_e32 v14, v146, v14
	v_fmac_f32_e32 v147, 0xbf52af12, v66
	v_add_f32_e32 v56, v1, v56
	v_fmac_f32_e32 v57, 0x3f6f5d39, v63
	v_mul_f32_e32 v183, 0xbf788fa5, v64
	v_add_f32_e32 v2, v44, v2
	v_add_f32_e32 v14, v147, v14
	v_fmac_f32_e32 v148, 0x3e750f2a, v69
	v_add_f32_e32 v56, v57, v56
	v_mov_b32_e32 v57, v183
	v_add_f32_e32 v2, v46, v2
	v_add_f32_e32 v14, v148, v14
	v_fmac_f32_e32 v149, 0x3eedf032, v113
	v_fmac_f32_e32 v57, 0x3e750f2a, v66
	v_mul_f32_e32 v184, 0xbf3f9e67, v67
	v_add_f32_e32 v2, v40, v2
	v_add_f32_e32 v14, v149, v14
	v_fmac_f32_e32 v150, 0xbf6f5d39, v126
	v_add_f32_e32 v56, v57, v56
	v_mov_b32_e32 v57, v184
	v_add_f32_e32 v3, v15, v3
	v_add_f32_e32 v2, v42, v2
	;; [unrolled: 1-line block ×3, first 2 shown]
	v_fma_f32 v14, v127, s14, -v151
	v_fmac_f32_e32 v57, 0xbf29c268, v69
	v_mul_f32_e32 v185, 0x3df6dbef, v70
	v_add_f32_e32 v2, v32, v2
	v_add_f32_e32 v14, v0, v14
	v_fma_f32 v32, v130, s12, -v152
	v_add_f32_e32 v56, v57, v56
	v_mov_b32_e32 v57, v185
	v_add_f32_e32 v14, v32, v14
	v_fma_f32 v32, v133, s5, -v153
	v_fmac_f32_e32 v57, 0xbf7e222b, v113
	v_mul_f32_e32 v186, 0x3f62ad3f, v114
	v_add_f32_e32 v14, v32, v14
	v_fma_f32 v32, v136, s15, -v154
	v_add_f32_e32 v56, v57, v56
	v_mov_b32_e32 v57, v186
	v_add_f32_e32 v14, v32, v14
	v_fma_f32 v32, v139, s4, -v155
	v_fmac_f32_e32 v57, 0xbeedf032, v126
	v_mul_f32_e32 v187, 0xbf52af12, v128
	v_add_f32_e32 v3, v37, v3
	v_add_f32_e32 v14, v32, v14
	v_fma_f32 v32, v142, s13, -v156
	v_fmac_f32_e32 v157, 0xbf6f5d39, v61
	v_add_f32_e32 v57, v57, v56
	v_mov_b32_e32 v56, v187
	v_mul_f32_e32 v188, 0xbf6f5d39, v131
	v_add_f32_e32 v3, v39, v3
	v_add_f32_e32 v14, v32, v14
	;; [unrolled: 1-line block ×3, first 2 shown]
	v_fmac_f32_e32 v158, 0x3f29c268, v63
	v_fmac_f32_e32 v56, 0x3f116cb1, v127
	v_mov_b32_e32 v189, v188
	v_add_f32_e32 v3, v45, v3
	v_add_f32_e32 v32, v158, v32
	v_fmac_f32_e32 v159, 0x3eedf032, v66
	v_add_f32_e32 v56, v0, v56
	v_fmac_f32_e32 v189, 0xbeb58ec6, v130
	v_add_f32_e32 v3, v47, v3
	v_add_f32_e32 v32, v159, v32
	v_fmac_f32_e32 v160, 0xbf7e222b, v69
	v_add_f32_e32 v56, v189, v56
	v_mul_f32_e32 v189, 0xbe750f2a, v134
	v_add_f32_e32 v3, v41, v3
	v_add_f32_e32 v32, v160, v32
	v_fmac_f32_e32 v161, 0x3e750f2a, v113
	v_mov_b32_e32 v190, v189
	v_add_f32_e32 v3, v43, v3
	v_add_f32_e32 v32, v161, v32
	v_fmac_f32_e32 v162, 0x3f52af12, v126
	v_fmac_f32_e32 v190, 0xbf788fa5, v133
	v_add_f32_e32 v3, v33, v3
	v_add_f32_e32 v33, v162, v32
	v_fma_f32 v32, v127, s13, -v163
	v_add_f32_e32 v56, v190, v56
	v_mul_f32_e32 v190, 0x3f29c268, v137
	v_add_f32_e32 v2, v34, v2
	v_add_f32_e32 v32, v0, v32
	v_fma_f32 v34, v130, s14, -v164
	v_mov_b32_e32 v191, v190
	v_add_f32_e32 v32, v34, v32
	v_fma_f32 v34, v133, s4, -v165
	v_fmac_f32_e32 v191, 0xbf3f9e67, v136
	v_add_f32_e32 v32, v34, v32
	v_fma_f32 v34, v136, s12, -v166
	v_add_f32_e32 v56, v191, v56
	v_mul_f32_e32 v191, 0x3f7e222b, v140
	v_add_f32_e32 v32, v34, v32
	v_fma_f32 v34, v139, s15, -v167
	v_mov_b32_e32 v192, v191
	v_add_f32_e32 v32, v34, v32
	v_fma_f32 v34, v142, s5, -v168
	v_fmac_f32_e32 v169, 0xbf7e222b, v61
	v_fmac_f32_e32 v192, 0x3df6dbef, v139
	v_add_f32_e32 v32, v34, v32
	v_add_f32_e32 v34, v1, v169
	v_fmac_f32_e32 v170, 0xbe750f2a, v63
	v_add_f32_e32 v56, v192, v56
	v_mul_f32_e32 v192, 0x3eedf032, v143
	v_add_f32_e32 v34, v170, v34
	v_fmac_f32_e32 v171, 0x3f6f5d39, v66
	v_mov_b32_e32 v193, v192
	v_add_f32_e32 v34, v171, v34
	v_fmac_f32_e32 v172, 0x3eedf032, v69
	v_fmac_f32_e32 v193, 0x3f62ad3f, v142
	v_add_f32_e32 v34, v172, v34
	v_fmac_f32_e32 v173, 0xbf52af12, v113
	v_add_f32_e32 v56, v193, v56
	v_mul_f32_e32 v193, 0x3f62ad3f, v58
	v_add_f32_e32 v34, v173, v34
	v_fmac_f32_e32 v174, 0xbf29c268, v126
	v_mov_b32_e32 v58, v193
	v_mul_f32_e32 v194, 0x3f116cb1, v59
	v_add_f32_e32 v3, v35, v3
	v_add_f32_e32 v35, v174, v34
	v_fma_f32 v34, v127, s12, -v175
	v_fmac_f32_e32 v58, 0x3eedf032, v61
	v_mov_b32_e32 v59, v194
	v_add_f32_e32 v34, v0, v34
	v_fma_f32 v36, v130, s15, -v176
	v_add_f32_e32 v58, v1, v58
	v_fmac_f32_e32 v59, 0x3f52af12, v63
	v_mul_f32_e32 v64, 0x3df6dbef, v64
	v_add_f32_e32 v34, v36, v34
	v_fma_f32 v36, v133, s13, -v177
	v_add_f32_e32 v58, v59, v58
	v_mov_b32_e32 v59, v64
	v_add_f32_e32 v34, v36, v34
	v_fma_f32 v36, v136, s4, -v178
	v_fmac_f32_e32 v59, 0x3f7e222b, v66
	v_mul_f32_e32 v67, 0xbeb58ec6, v67
	v_add_f32_e32 v34, v36, v34
	v_fma_f32 v36, v139, s5, -v179
	v_add_f32_e32 v58, v59, v58
	v_mov_b32_e32 v59, v67
	v_add_f32_e32 v34, v36, v34
	v_fma_f32 v36, v142, s14, -v180
	v_fmac_f32_e32 v181, 0xbf52af12, v61
	v_fmac_f32_e32 v59, 0x3f6f5d39, v69
	v_mul_f32_e32 v70, 0xbf3f9e67, v70
	v_add_f32_e32 v34, v36, v34
	v_add_f32_e32 v36, v1, v181
	v_fmac_f32_e32 v182, 0xbf6f5d39, v63
	v_add_f32_e32 v58, v59, v58
	v_mov_b32_e32 v59, v70
	v_add_f32_e32 v36, v182, v36
	v_fmac_f32_e32 v183, 0xbe750f2a, v66
	v_fmac_f32_e32 v59, 0x3f29c268, v113
	v_mul_f32_e32 v114, 0xbf788fa5, v114
	v_add_f32_e32 v36, v183, v36
	v_fmac_f32_e32 v184, 0x3f29c268, v69
	v_add_f32_e32 v58, v59, v58
	v_mov_b32_e32 v59, v114
	v_add_f32_e32 v36, v184, v36
	v_fmac_f32_e32 v185, 0x3f7e222b, v113
	v_fmac_f32_e32 v59, 0x3e750f2a, v126
	v_mul_f32_e32 v128, 0xbeedf032, v128
	v_add_f32_e32 v36, v185, v36
	v_fmac_f32_e32 v186, 0x3eedf032, v126
	v_add_f32_e32 v59, v59, v58
	v_mov_b32_e32 v58, v128
	v_mul_f32_e32 v131, 0xbf52af12, v131
	v_add_f32_e32 v37, v186, v36
	v_fma_f32 v36, v127, s5, -v187
	v_fmac_f32_e32 v58, 0x3f62ad3f, v127
	v_mov_b32_e32 v195, v131
	v_add_f32_e32 v36, v0, v36
	v_fma_f32 v38, v130, s13, -v188
	v_add_f32_e32 v58, v0, v58
	v_fmac_f32_e32 v195, 0x3f116cb1, v130
	v_mul_f32_e32 v134, 0xbf7e222b, v134
	v_add_f32_e32 v36, v38, v36
	v_fma_f32 v38, v133, s15, -v189
	v_add_f32_e32 v58, v195, v58
	v_mov_b32_e32 v195, v134
	v_add_f32_e32 v36, v38, v36
	v_fma_f32 v38, v136, s14, -v190
	v_fmac_f32_e32 v195, 0x3df6dbef, v133
	v_mul_f32_e32 v137, 0xbf6f5d39, v137
	v_add_f32_e32 v36, v38, v36
	v_fma_f32 v38, v139, s12, -v191
	v_add_f32_e32 v58, v195, v58
	v_mov_b32_e32 v195, v137
	v_add_f32_e32 v36, v38, v36
	v_fma_f32 v38, v142, s4, -v192
	v_fmac_f32_e32 v195, 0xbeb58ec6, v136
	v_mul_f32_e32 v140, 0xbf29c268, v140
	v_add_f32_e32 v36, v38, v36
	v_fmac_f32_e32 v193, 0xbeedf032, v61
	v_fma_f32 v38, v127, s4, -v128
	v_add_f32_e32 v58, v195, v58
	v_mov_b32_e32 v195, v140
	v_add_f32_e32 v1, v1, v193
	v_fmac_f32_e32 v194, 0xbf52af12, v63
	v_add_f32_e32 v0, v0, v38
	v_fma_f32 v38, v130, s5, -v131
	v_fmac_f32_e32 v195, 0xbf3f9e67, v139
	v_mul_f32_e32 v143, 0xbe750f2a, v143
	v_add_f32_e32 v1, v194, v1
	v_fmac_f32_e32 v64, 0xbf7e222b, v66
	v_add_f32_e32 v0, v38, v0
	v_fma_f32 v38, v133, s12, -v134
	v_add_f32_e32 v58, v195, v58
	v_mov_b32_e32 v195, v143
	v_add_f32_e32 v1, v64, v1
	v_fmac_f32_e32 v67, 0xbf6f5d39, v69
	v_add_f32_e32 v0, v38, v0
	v_fma_f32 v38, v136, s13, -v137
	v_fmac_f32_e32 v195, 0xbf788fa5, v142
	v_add_f32_e32 v1, v67, v1
	v_fmac_f32_e32 v70, 0xbf29c268, v113
	v_add_f32_e32 v0, v38, v0
	v_fma_f32 v38, v139, s14, -v140
	v_add_f32_e32 v58, v195, v58
	v_add_f32_e32 v3, v112, v3
	;; [unrolled: 1-line block ×4, first 2 shown]
	v_fmac_f32_e32 v114, 0xbe750f2a, v126
	v_add_f32_e32 v0, v38, v0
	v_fma_f32 v38, v142, s15, -v143
	v_add_f32_e32 v1, v114, v1
	v_add_f32_e32 v0, v38, v0
	ds_write2_b64 v115, v[2:3], v[58:59] offset0:169 offset1:170
	ds_write2_b64 v115, v[56:57], v[54:55] offset0:171 offset1:172
	;; [unrolled: 1-line block ×6, first 2 shown]
	ds_write_b64 v115, v[0:1] offset:1448
.LBB0_13:
	s_or_b64 exec, exec, s[0:1]
	s_waitcnt lgkmcnt(0)
	; wave barrier
	s_waitcnt lgkmcnt(0)
	ds_read2_b64 v[0:3], v117 offset1:13
	ds_read2_b64 v[12:15], v117 offset0:78 offset1:91
	ds_read2_b64 v[32:35], v117 offset0:104 offset1:117
	;; [unrolled: 1-line block ×6, first 2 shown]
	s_waitcnt lgkmcnt(5)
	v_mul_f32_e32 v54, v100, v15
	v_fmac_f32_e32 v54, v99, v14
	v_mul_f32_e32 v14, v100, v14
	v_fma_f32 v15, v99, v15, -v14
	s_waitcnt lgkmcnt(4)
	v_mul_f32_e32 v14, v100, v32
	v_mul_f32_e32 v55, v100, v33
	v_fma_f32 v33, v99, v33, -v14
	v_mul_f32_e32 v14, v106, v34
	v_mul_f32_e32 v56, v106, v35
	v_fma_f32 v35, v105, v35, -v14
	s_waitcnt lgkmcnt(2)
	v_mul_f32_e32 v14, v104, v40
	v_mul_f32_e32 v57, v104, v41
	v_fma_f32 v41, v103, v41, -v14
	v_mul_f32_e32 v14, v102, v42
	;; [unrolled: 7-line block ×3, first 2 shown]
	v_mul_f32_e32 v14, v108, v50
	v_fmac_f32_e32 v55, v99, v32
	v_fmac_f32_e32 v56, v105, v34
	v_fmac_f32_e32 v57, v103, v40
	v_fmac_f32_e32 v58, v101, v42
	v_fmac_f32_e32 v59, v109, v48
	v_fmac_f32_e32 v60, v107, v50
	v_fma_f32 v51, v107, v51, -v14
	v_sub_f32_e32 v14, v0, v54
	v_sub_f32_e32 v15, v1, v15
	;; [unrolled: 1-line block ×14, first 2 shown]
	v_fma_f32 v0, v0, 2.0, -v14
	v_fma_f32 v1, v1, 2.0, -v15
	;; [unrolled: 1-line block ×14, first 2 shown]
	s_waitcnt lgkmcnt(0)
	; wave barrier
	ds_write2_b64 v117, v[0:1], v[14:15] offset1:13
	ds_write2_b64 v117, v[2:3], v[32:33] offset0:26 offset1:39
	ds_write2_b64 v119, v[36:37], v[34:35] offset0:52 offset1:65
	;; [unrolled: 1-line block ×6, first 2 shown]
	s_waitcnt lgkmcnt(0)
	; wave barrier
	s_waitcnt lgkmcnt(0)
	ds_read2_b64 v[0:3], v117 offset1:13
	ds_read2_b64 v[12:15], v117 offset0:26 offset1:39
	ds_read2_b64 v[32:35], v117 offset0:52 offset1:65
	;; [unrolled: 1-line block ×6, first 2 shown]
	s_waitcnt lgkmcnt(5)
	v_mul_f32_e32 v54, v25, v13
	v_fmac_f32_e32 v54, v24, v12
	v_mul_f32_e32 v12, v25, v12
	s_waitcnt lgkmcnt(3)
	v_mul_f32_e32 v25, v17, v37
	v_mul_f32_e32 v17, v17, v36
	v_fmac_f32_e32 v25, v16, v36
	v_fma_f32 v16, v16, v37, -v17
	s_waitcnt lgkmcnt(2)
	v_mul_f32_e32 v17, v19, v41
	v_mul_f32_e32 v19, v19, v40
	v_fmac_f32_e32 v17, v18, v40
	v_fma_f32 v18, v18, v41, -v19
	s_waitcnt lgkmcnt(1)
	v_mul_f32_e32 v19, v5, v45
	v_mul_f32_e32 v5, v5, v44
	v_fma_f32 v12, v24, v13, -v12
	v_mul_f32_e32 v13, v27, v33
	v_mul_f32_e32 v24, v27, v32
	v_fmac_f32_e32 v19, v4, v44
	v_fma_f32 v4, v4, v45, -v5
	s_waitcnt lgkmcnt(0)
	v_mul_f32_e32 v5, v7, v49
	v_mul_f32_e32 v7, v7, v48
	v_fmac_f32_e32 v13, v26, v32
	v_fma_f32 v24, v26, v33, -v24
	v_fmac_f32_e32 v5, v6, v48
	v_fma_f32 v6, v6, v49, -v7
	v_mul_f32_e32 v26, v29, v15
	v_mul_f32_e32 v7, v29, v14
	v_fmac_f32_e32 v26, v28, v14
	v_fma_f32 v27, v28, v15, -v7
	v_mul_f32_e32 v28, v31, v35
	v_mul_f32_e32 v7, v31, v34
	;; [unrolled: 4-line block ×4, first 2 shown]
	v_fmac_f32_e32 v21, v22, v42
	v_fma_f32 v22, v22, v43, -v7
	v_mul_f32_e32 v7, v9, v46
	v_fma_f32 v31, v8, v47, -v7
	v_mul_f32_e32 v7, v11, v50
	v_mul_f32_e32 v23, v9, v47
	;; [unrolled: 1-line block ×3, first 2 shown]
	v_fma_f32 v33, v10, v51, -v7
	v_add_f32_e32 v7, v54, v5
	v_add_f32_e32 v9, v13, v19
	v_fmac_f32_e32 v23, v8, v46
	v_fmac_f32_e32 v32, v10, v50
	v_add_f32_e32 v8, v12, v6
	v_sub_f32_e32 v6, v12, v6
	v_add_f32_e32 v10, v24, v4
	v_sub_f32_e32 v11, v13, v19
	v_add_f32_e32 v12, v25, v17
	v_add_f32_e32 v13, v16, v18
	v_sub_f32_e32 v15, v18, v16
	v_add_f32_e32 v16, v9, v7
	v_sub_f32_e32 v14, v17, v25
	;; [unrolled: 2-line block ×3, first 2 shown]
	v_sub_f32_e32 v7, v7, v12
	v_sub_f32_e32 v9, v12, v9
	v_add_f32_e32 v12, v12, v16
	v_sub_f32_e32 v4, v24, v4
	v_sub_f32_e32 v19, v10, v8
	;; [unrolled: 1-line block ×4, first 2 shown]
	v_add_f32_e32 v13, v13, v17
	v_add_f32_e32 v0, v0, v12
	v_mad_u64_u32 v[52:53], s[0:1], s10, v84, 0
	v_sub_f32_e32 v5, v54, v5
	v_add_f32_e32 v24, v14, v11
	v_add_f32_e32 v25, v15, v4
	v_sub_f32_e32 v34, v14, v11
	v_sub_f32_e32 v35, v15, v4
	v_sub_f32_e32 v4, v4, v6
	v_add_f32_e32 v1, v1, v13
	v_mov_b32_e32 v36, v0
	v_sub_f32_e32 v14, v5, v14
	v_sub_f32_e32 v15, v6, v15
	;; [unrolled: 1-line block ×3, first 2 shown]
	v_add_f32_e32 v5, v24, v5
	v_add_f32_e32 v6, v25, v6
	v_mul_f32_e32 v7, 0x3f4a47b2, v7
	v_mul_f32_e32 v8, 0x3f4a47b2, v8
	;; [unrolled: 1-line block ×6, first 2 shown]
	s_mov_b32 s0, 0xbf5ff5aa
	v_mul_f32_e32 v35, 0xbf5ff5aa, v4
	v_fmac_f32_e32 v36, 0xbf955555, v12
	v_mov_b32_e32 v12, v1
	s_mov_b32 s1, 0x3f3bfb3b
	s_mov_b32 s4, 0xbf3bfb3b
	;; [unrolled: 1-line block ×3, first 2 shown]
	v_mul_f32_e32 v34, 0xbf5ff5aa, v11
	v_fmac_f32_e32 v12, 0xbf955555, v13
	v_fma_f32 v13, v18, s1, -v16
	v_fma_f32 v16, v19, s1, -v17
	;; [unrolled: 1-line block ×3, first 2 shown]
	v_fmac_f32_e32 v7, 0x3d64c772, v9
	v_fma_f32 v9, v19, s4, -v8
	v_fmac_f32_e32 v8, 0x3d64c772, v10
	v_fma_f32 v11, v11, s0, -v24
	;; [unrolled: 2-line block ×4, first 2 shown]
	v_fma_f32 v14, v14, s5, -v34
	v_add_f32_e32 v19, v8, v12
	v_add_f32_e32 v16, v16, v12
	;; [unrolled: 1-line block ×3, first 2 shown]
	v_fmac_f32_e32 v24, 0xbee1c552, v5
	v_fmac_f32_e32 v11, 0xbee1c552, v5
	;; [unrolled: 1-line block ×3, first 2 shown]
	v_add_f32_e32 v18, v7, v36
	v_add_f32_e32 v13, v13, v36
	;; [unrolled: 1-line block ×3, first 2 shown]
	v_fmac_f32_e32 v25, 0xbee1c552, v6
	v_fmac_f32_e32 v10, 0xbee1c552, v6
	;; [unrolled: 1-line block ×3, first 2 shown]
	v_sub_f32_e32 v5, v19, v24
	v_add_f32_e32 v6, v15, v17
	v_add_f32_e32 v9, v11, v16
	v_sub_f32_e32 v11, v16, v11
	v_sub_f32_e32 v12, v17, v15
	v_add_f32_e32 v15, v24, v19
	v_add_f32_e32 v16, v26, v32
	;; [unrolled: 1-line block ×4, first 2 shown]
	v_sub_f32_e32 v7, v34, v14
	v_sub_f32_e32 v8, v13, v10
	v_add_f32_e32 v10, v10, v13
	v_add_f32_e32 v13, v14, v34
	v_sub_f32_e32 v14, v18, v25
	v_add_f32_e32 v17, v27, v33
	v_sub_f32_e32 v19, v27, v33
	v_add_f32_e32 v25, v29, v31
	v_sub_f32_e32 v23, v28, v23
	v_add_f32_e32 v27, v30, v21
	v_add_f32_e32 v28, v20, v22
	v_sub_f32_e32 v20, v22, v20
	v_add_f32_e32 v22, v24, v16
	v_sub_f32_e32 v18, v26, v32
	v_sub_f32_e32 v26, v29, v31
	v_add_f32_e32 v29, v25, v17
	v_add_f32_e32 v22, v27, v22
	v_sub_f32_e32 v21, v21, v30
	v_sub_f32_e32 v30, v24, v16
	;; [unrolled: 1-line block ×4, first 2 shown]
	v_add_f32_e32 v27, v28, v29
	v_add_f32_e32 v2, v2, v22
	v_sub_f32_e32 v31, v25, v17
	v_sub_f32_e32 v17, v17, v28
	v_sub_f32_e32 v25, v28, v25
	v_add_f32_e32 v32, v21, v23
	v_add_f32_e32 v33, v20, v26
	v_sub_f32_e32 v34, v21, v23
	v_sub_f32_e32 v35, v20, v26
	;; [unrolled: 1-line block ×4, first 2 shown]
	v_add_f32_e32 v3, v3, v27
	v_mov_b32_e32 v36, v2
	v_sub_f32_e32 v21, v18, v21
	v_sub_f32_e32 v20, v19, v20
	v_add_f32_e32 v18, v32, v18
	v_add_f32_e32 v19, v33, v19
	v_mul_f32_e32 v16, 0x3f4a47b2, v16
	v_mul_f32_e32 v17, 0x3f4a47b2, v17
	;; [unrolled: 1-line block ×8, first 2 shown]
	v_fmac_f32_e32 v36, 0xbf955555, v22
	v_mov_b32_e32 v22, v3
	v_fmac_f32_e32 v22, 0xbf955555, v27
	v_fma_f32 v27, v30, s1, -v28
	v_fma_f32 v28, v31, s1, -v29
	;; [unrolled: 1-line block ×3, first 2 shown]
	v_fmac_f32_e32 v16, 0x3d64c772, v24
	v_fma_f32 v24, v31, s4, -v17
	v_fmac_f32_e32 v17, 0x3d64c772, v25
	v_fma_f32 v23, v23, s0, -v32
	;; [unrolled: 2-line block ×4, first 2 shown]
	v_fma_f32 v30, v20, s5, -v35
	v_add_f32_e32 v31, v16, v36
	v_add_f32_e32 v34, v17, v22
	v_add_f32_e32 v27, v27, v36
	v_add_f32_e32 v28, v28, v22
	v_add_f32_e32 v29, v29, v36
	v_add_f32_e32 v35, v24, v22
	v_fmac_f32_e32 v32, 0xbee1c552, v18
	v_fmac_f32_e32 v33, 0xbee1c552, v19
	;; [unrolled: 1-line block ×6, first 2 shown]
	v_add_f32_e32 v16, v33, v31
	v_sub_f32_e32 v17, v34, v32
	v_add_f32_e32 v18, v30, v29
	v_sub_f32_e32 v19, v35, v26
	v_sub_f32_e32 v20, v27, v25
	v_add_f32_e32 v21, v23, v28
	v_add_f32_e32 v22, v25, v27
	v_sub_f32_e32 v23, v28, v23
	v_sub_f32_e32 v24, v29, v30
	v_add_f32_e32 v25, v26, v35
	v_sub_f32_e32 v26, v31, v33
	v_add_f32_e32 v27, v32, v34
	ds_write2_b64 v117, v[4:5], v[6:7] offset0:26 offset1:52
	ds_write2_b64 v117, v[8:9], v[10:11] offset0:78 offset1:104
	;; [unrolled: 1-line block ×3, first 2 shown]
	ds_write2_b64 v117, v[0:1], v[2:3] offset1:13
	ds_write2_b64 v125, v[16:17], v[18:19] offset0:26 offset1:52
	ds_write2_b64 v125, v[20:21], v[22:23] offset0:78 offset1:104
	;; [unrolled: 1-line block ×3, first 2 shown]
	s_waitcnt lgkmcnt(0)
	; wave barrier
	s_waitcnt lgkmcnt(0)
	ds_read2_b64 v[0:3], v117 offset1:14
	s_mov_b32 s4, 0x16816817
	s_mov_b32 s5, 0x3f768168
	v_mad_u64_u32 v[7:8], s[0:1], s8, v118, 0
	s_waitcnt lgkmcnt(0)
	v_mul_f32_e32 v5, v98, v1
	v_fmac_f32_e32 v5, v97, v0
	v_cvt_f64_f32_e32 v[5:6], v5
	v_mul_f32_e32 v0, v98, v0
	v_fma_f32 v0, v97, v1, -v0
	v_cvt_f64_f32_e32 v[0:1], v0
	v_mul_f64 v[5:6], v[5:6], s[4:5]
	v_mov_b32_e32 v4, v53
	v_mul_f64 v[0:1], v[0:1], s[4:5]
	v_mad_u64_u32 v[9:10], s[0:1], s11, v84, v[4:5]
	v_mov_b32_e32 v4, v8
	v_mad_u64_u32 v[10:11], s[0:1], s9, v118, v[4:5]
	v_mov_b32_e32 v53, v9
	v_mul_f32_e32 v9, v96, v3
	v_fmac_f32_e32 v9, v95, v2
	v_cvt_f32_f64_e32 v4, v[5:6]
	v_cvt_f32_f64_e32 v5, v[0:1]
	v_mov_b32_e32 v8, v10
	v_lshlrev_b64 v[0:1], 3, v[52:53]
	v_cvt_f64_f32_e32 v[9:10], v9
	v_mul_f32_e32 v2, v96, v2
	v_mov_b32_e32 v6, s7
	v_fma_f32 v2, v95, v3, -v2
	v_add_co_u32_e64 v0, s[0:1], s6, v0
	v_cvt_f64_f32_e32 v[2:3], v2
	v_addc_co_u32_e64 v1, s[0:1], v6, v1, s[0:1]
	v_lshlrev_b64 v[6:7], 3, v[7:8]
	v_mul_f64 v[9:10], v[9:10], s[4:5]
	v_add_co_u32_e64 v6, s[0:1], v0, v6
	v_addc_co_u32_e64 v7, s[0:1], v1, v7, s[0:1]
	v_mul_f64 v[11:12], v[2:3], s[4:5]
	global_store_dwordx2 v[6:7], v[4:5], off
	ds_read2_b64 v[2:5], v117 offset0:28 offset1:42
	v_cvt_f32_f64_e32 v8, v[9:10]
	s_mul_i32 s0, s9, 0x70
	s_mul_hi_u32 s6, s8, 0x70
	s_add_i32 s6, s6, s0
	s_waitcnt lgkmcnt(0)
	v_mul_f32_e32 v10, v92, v3
	v_fmac_f32_e32 v10, v91, v2
	v_mul_f32_e32 v2, v92, v2
	v_fma_f32 v2, v91, v3, -v2
	v_cvt_f32_f64_e32 v9, v[11:12]
	v_cvt_f64_f32_e32 v[10:11], v10
	v_cvt_f64_f32_e32 v[2:3], v2
	s_mul_i32 s7, s8, 0x70
	v_mov_b32_e32 v12, s6
	v_add_co_u32_e64 v6, s[0:1], s7, v6
	v_mul_f64 v[10:11], v[10:11], s[4:5]
	v_mul_f64 v[2:3], v[2:3], s[4:5]
	v_addc_co_u32_e64 v7, s[0:1], v7, v12, s[0:1]
	global_store_dwordx2 v[6:7], v[8:9], off
	v_mul_f32_e32 v8, v86, v5
	v_fmac_f32_e32 v8, v85, v4
	v_cvt_f64_f32_e32 v[8:9], v8
	v_cvt_f32_f64_e32 v10, v[10:11]
	v_cvt_f32_f64_e32 v11, v[2:3]
	v_mul_f32_e32 v2, v86, v4
	v_mul_f64 v[8:9], v[8:9], s[4:5]
	v_fma_f32 v2, v85, v5, -v2
	v_cvt_f64_f32_e32 v[12:13], v2
	ds_read2_b64 v[2:5], v117 offset0:56 offset1:70
	v_mov_b32_e32 v14, s6
	v_add_co_u32_e64 v6, s[0:1], s7, v6
	v_addc_co_u32_e64 v7, s[0:1], v7, v14, s[0:1]
	global_store_dwordx2 v[6:7], v[10:11], off
	v_mul_f64 v[10:11], v[12:13], s[4:5]
	v_cvt_f32_f64_e32 v8, v[8:9]
	s_waitcnt lgkmcnt(0)
	v_mul_f32_e32 v9, v94, v3
	v_fmac_f32_e32 v9, v93, v2
	v_mul_f32_e32 v2, v94, v2
	v_fma_f32 v2, v93, v3, -v2
	v_cvt_f64_f32_e32 v[12:13], v9
	v_cvt_f64_f32_e32 v[2:3], v2
	v_cvt_f32_f64_e32 v9, v[10:11]
	v_add_co_u32_e64 v6, s[0:1], s7, v6
	v_mul_f64 v[10:11], v[12:13], s[4:5]
	v_mul_f64 v[2:3], v[2:3], s[4:5]
	v_addc_co_u32_e64 v7, s[0:1], v7, v14, s[0:1]
	global_store_dwordx2 v[6:7], v[8:9], off
	v_mul_f32_e32 v8, v90, v5
	v_fmac_f32_e32 v8, v89, v4
	v_cvt_f64_f32_e32 v[8:9], v8
	v_cvt_f32_f64_e32 v10, v[10:11]
	v_cvt_f32_f64_e32 v11, v[2:3]
	v_mul_f32_e32 v2, v90, v4
	v_fma_f32 v2, v89, v5, -v2
	v_mul_f64 v[8:9], v[8:9], s[4:5]
	v_cvt_f64_f32_e32 v[12:13], v2
	v_add_co_u32_e64 v6, s[0:1], s7, v6
	ds_read2_b64 v[2:5], v117 offset0:84 offset1:98
	v_addc_co_u32_e64 v7, s[0:1], v7, v14, s[0:1]
	global_store_dwordx2 v[6:7], v[10:11], off
	v_mul_f64 v[10:11], v[12:13], s[4:5]
	v_cvt_f32_f64_e32 v8, v[8:9]
	s_waitcnt lgkmcnt(0)
	v_mul_f32_e32 v9, v88, v3
	v_fmac_f32_e32 v9, v87, v2
	v_mul_f32_e32 v2, v88, v2
	v_fma_f32 v2, v87, v3, -v2
	v_cvt_f64_f32_e32 v[12:13], v9
	v_cvt_f64_f32_e32 v[2:3], v2
	v_cvt_f32_f64_e32 v9, v[10:11]
	v_add_co_u32_e64 v6, s[0:1], s7, v6
	v_mul_f64 v[10:11], v[12:13], s[4:5]
	v_mul_f64 v[2:3], v[2:3], s[4:5]
	v_addc_co_u32_e64 v7, s[0:1], v7, v14, s[0:1]
	global_store_dwordx2 v[6:7], v[8:9], off
	v_mul_f32_e32 v8, v81, v5
	v_fmac_f32_e32 v8, v80, v4
	v_cvt_f64_f32_e32 v[8:9], v8
	v_cvt_f32_f64_e32 v10, v[10:11]
	v_cvt_f32_f64_e32 v11, v[2:3]
	v_mul_f32_e32 v2, v81, v4
	v_mul_f64 v[8:9], v[8:9], s[4:5]
	v_fma_f32 v2, v80, v5, -v2
	v_cvt_f64_f32_e32 v[12:13], v2
	ds_read2_b64 v[2:5], v117 offset0:112 offset1:126
	v_add_co_u32_e64 v6, s[0:1], s7, v6
	v_addc_co_u32_e64 v7, s[0:1], v7, v14, s[0:1]
	v_cvt_f32_f64_e32 v8, v[8:9]
	s_waitcnt lgkmcnt(0)
	v_mul_f32_e32 v9, v83, v3
	global_store_dwordx2 v[6:7], v[10:11], off
	v_mul_f64 v[10:11], v[12:13], s[4:5]
	v_fmac_f32_e32 v9, v82, v2
	v_mul_f32_e32 v2, v83, v2
	v_fma_f32 v2, v82, v3, -v2
	v_cvt_f64_f32_e32 v[2:3], v2
	v_cvt_f64_f32_e32 v[12:13], v9
	v_mul_f64 v[2:3], v[2:3], s[4:5]
	v_cvt_f32_f64_e32 v9, v[10:11]
	v_mul_f64 v[10:11], v[12:13], s[4:5]
	v_mad_u64_u32 v[12:13], s[0:1], s8, v116, 0
	v_add_co_u32_e64 v6, s[0:1], s7, v6
	v_addc_co_u32_e64 v7, s[0:1], v7, v14, s[0:1]
	v_mad_u64_u32 v[13:14], s[0:1], s9, v116, v[13:14]
	global_store_dwordx2 v[6:7], v[8:9], off
	v_cvt_f32_f64_e32 v9, v[2:3]
	v_mul_f32_e32 v2, v77, v5
	v_fmac_f32_e32 v2, v76, v4
	v_cvt_f32_f64_e32 v8, v[10:11]
	v_lshlrev_b64 v[10:11], 3, v[12:13]
	v_cvt_f64_f32_e32 v[12:13], v2
	v_mul_f32_e32 v2, v77, v4
	v_fma_f32 v2, v76, v5, -v2
	v_cvt_f64_f32_e32 v[14:15], v2
	ds_read2_b64 v[2:5], v117 offset0:140 offset1:154
	v_mul_f64 v[12:13], v[12:13], s[4:5]
	v_add_co_u32_e64 v10, s[0:1], v0, v10
	v_mul_f64 v[14:15], v[14:15], s[4:5]
	s_waitcnt lgkmcnt(0)
	v_mul_f32_e32 v16, v79, v3
	v_fmac_f32_e32 v16, v78, v2
	v_mul_f32_e32 v2, v79, v2
	v_fma_f32 v2, v78, v3, -v2
	v_cvt_f64_f32_e32 v[2:3], v2
	v_cvt_f64_f32_e32 v[16:17], v16
	v_addc_co_u32_e64 v11, s[0:1], v1, v11, s[0:1]
	v_mul_f64 v[2:3], v[2:3], s[4:5]
	v_mul_f64 v[16:17], v[16:17], s[4:5]
	v_cvt_f32_f64_e32 v12, v[12:13]
	v_mov_b32_e32 v13, 0xe0
	global_store_dwordx2 v[10:11], v[8:9], off
	v_mad_u64_u32 v[6:7], s[0:1], s8, v13, v[6:7]
	v_cvt_f32_f64_e32 v13, v[14:15]
	v_cvt_f32_f64_e32 v9, v[2:3]
	v_mul_f32_e32 v2, v75, v5
	v_fmac_f32_e32 v2, v74, v4
	v_mul_f32_e32 v4, v75, v4
	v_fma_f32 v4, v74, v5, -v4
	v_cvt_f64_f32_e32 v[2:3], v2
	v_cvt_f64_f32_e32 v[4:5], v4
	ds_read_b64 v[10:11], v117 offset:1344
	s_mul_i32 s0, s9, 0xe0
	v_cvt_f32_f64_e32 v8, v[16:17]
	v_add_u32_e32 v7, s0, v7
	global_store_dwordx2 v[6:7], v[12:13], off
	v_mov_b32_e32 v12, s6
	v_add_co_u32_e64 v6, s[0:1], s7, v6
	v_addc_co_u32_e64 v7, s[0:1], v7, v12, s[0:1]
	v_mul_f64 v[2:3], v[2:3], s[4:5]
	v_mul_f64 v[4:5], v[4:5], s[4:5]
	global_store_dwordx2 v[6:7], v[8:9], off
	s_waitcnt lgkmcnt(0)
	v_mul_f32_e32 v8, v73, v11
	v_fmac_f32_e32 v8, v72, v10
	v_mul_f32_e32 v10, v73, v10
	v_fma_f32 v10, v72, v11, -v10
	v_cvt_f64_f32_e32 v[8:9], v8
	v_cvt_f64_f32_e32 v[10:11], v10
	v_cvt_f32_f64_e32 v2, v[2:3]
	v_cvt_f32_f64_e32 v3, v[4:5]
	v_mul_f64 v[4:5], v[8:9], s[4:5]
	v_mul_f64 v[8:9], v[10:11], s[4:5]
	v_mov_b32_e32 v10, s6
	v_add_co_u32_e64 v6, s[0:1], s7, v6
	v_addc_co_u32_e64 v7, s[0:1], v7, v10, s[0:1]
	global_store_dwordx2 v[6:7], v[2:3], off
	v_cvt_f32_f64_e32 v2, v[4:5]
	v_cvt_f32_f64_e32 v3, v[8:9]
	v_mov_b32_e32 v5, s6
	v_add_co_u32_e64 v4, s[0:1], s7, v6
	v_addc_co_u32_e64 v5, s[0:1], v7, v5, s[0:1]
	global_store_dwordx2 v[4:5], v[2:3], off
	s_and_b64 exec, exec, vcc
	s_cbranch_execz .LBB0_15
; %bb.14:
	ds_read2_b64 v[2:5], v115 offset0:13 offset1:27
	s_load_dwordx2 s[0:1], s[2:3], 0x68
	v_mov_b32_e32 v8, 0x68
	s_waitcnt lgkmcnt(0)
	v_mul_f32_e32 v6, s1, v3
	v_mul_f32_e32 v7, s1, v2
	v_fmac_f32_e32 v6, s0, v2
	v_fma_f32 v7, s0, v3, -v7
	v_cvt_f64_f32_e32 v[2:3], v6
	v_cvt_f64_f32_e32 v[6:7], v7
	v_mad_u64_u32 v[8:9], s[0:1], s8, v8, v[0:1]
	v_mul_f64 v[2:3], v[2:3], s[4:5]
	v_mul_f64 v[6:7], v[6:7], s[4:5]
	s_mul_i32 s0, s9, 0x68
	v_add_u32_e32 v9, s0, v9
	v_cvt_f32_f64_e32 v2, v[2:3]
	v_cvt_f32_f64_e32 v3, v[6:7]
	v_mov_b32_e32 v6, 0xd8
	global_store_dwordx2 v[8:9], v[2:3], off
	s_load_dwordx2 s[0:1], s[2:3], 0xd8
	s_waitcnt lgkmcnt(0)
	v_mul_f32_e32 v2, s1, v5
	v_mul_f32_e32 v3, s1, v4
	v_fmac_f32_e32 v2, s0, v4
	v_fma_f32 v4, s0, v5, -v3
	v_cvt_f64_f32_e32 v[2:3], v2
	v_cvt_f64_f32_e32 v[4:5], v4
	v_mad_u64_u32 v[6:7], s[0:1], s8, v6, v[0:1]
	v_mul_f64 v[2:3], v[2:3], s[4:5]
	v_mul_f64 v[4:5], v[4:5], s[4:5]
	s_mul_i32 s0, s9, 0xd8
	v_add_u32_e32 v7, s0, v7
	v_cvt_f32_f64_e32 v8, v[2:3]
	v_cvt_f32_f64_e32 v9, v[4:5]
	ds_read2_b64 v[2:5], v115 offset0:41 offset1:55
	global_store_dwordx2 v[6:7], v[8:9], off
	s_load_dwordx2 s[0:1], s[2:3], 0x148
	v_mov_b32_e32 v8, 0x148
	s_waitcnt lgkmcnt(0)
	v_mul_f32_e32 v6, s1, v3
	v_mul_f32_e32 v7, s1, v2
	v_fmac_f32_e32 v6, s0, v2
	v_fma_f32 v7, s0, v3, -v7
	v_cvt_f64_f32_e32 v[2:3], v6
	v_cvt_f64_f32_e32 v[6:7], v7
	v_mad_u64_u32 v[8:9], s[0:1], s8, v8, v[0:1]
	v_mul_f64 v[2:3], v[2:3], s[4:5]
	v_mul_f64 v[6:7], v[6:7], s[4:5]
	s_mul_i32 s0, s9, 0x148
	v_add_u32_e32 v9, s0, v9
	v_cvt_f32_f64_e32 v2, v[2:3]
	v_cvt_f32_f64_e32 v3, v[6:7]
	v_mov_b32_e32 v6, 0x1b8
	global_store_dwordx2 v[8:9], v[2:3], off
	s_load_dwordx2 s[0:1], s[2:3], 0x1b8
	s_waitcnt lgkmcnt(0)
	v_mul_f32_e32 v2, s1, v5
	v_mul_f32_e32 v3, s1, v4
	v_fmac_f32_e32 v2, s0, v4
	v_fma_f32 v4, s0, v5, -v3
	v_cvt_f64_f32_e32 v[2:3], v2
	v_cvt_f64_f32_e32 v[4:5], v4
	v_mad_u64_u32 v[6:7], s[0:1], s8, v6, v[0:1]
	v_mul_f64 v[2:3], v[2:3], s[4:5]
	v_mul_f64 v[4:5], v[4:5], s[4:5]
	s_mul_i32 s0, s9, 0x1b8
	v_add_u32_e32 v7, s0, v7
	v_cvt_f32_f64_e32 v8, v[2:3]
	v_cvt_f32_f64_e32 v9, v[4:5]
	ds_read2_b64 v[2:5], v115 offset0:69 offset1:83
	global_store_dwordx2 v[6:7], v[8:9], off
	;; [unrolled: 35-line block ×5, first 2 shown]
	s_load_dwordx2 s[0:1], s[2:3], 0x4c8
	v_mov_b32_e32 v8, 0x4c8
	s_waitcnt lgkmcnt(0)
	v_mul_f32_e32 v6, s1, v3
	v_mul_f32_e32 v7, s1, v2
	v_fmac_f32_e32 v6, s0, v2
	v_fma_f32 v7, s0, v3, -v7
	v_cvt_f64_f32_e32 v[2:3], v6
	v_cvt_f64_f32_e32 v[6:7], v7
	v_mad_u64_u32 v[8:9], s[0:1], s8, v8, v[0:1]
	v_mul_f64 v[2:3], v[2:3], s[4:5]
	v_mul_f64 v[6:7], v[6:7], s[4:5]
	s_mul_i32 s0, s9, 0x4c8
	v_add_u32_e32 v9, s0, v9
	v_cvt_f32_f64_e32 v2, v[2:3]
	v_cvt_f32_f64_e32 v3, v[6:7]
	v_mov_b32_e32 v6, 0x538
	global_store_dwordx2 v[8:9], v[2:3], off
	s_load_dwordx2 s[0:1], s[2:3], 0x538
	s_waitcnt lgkmcnt(0)
	v_mul_f32_e32 v2, s1, v5
	v_mul_f32_e32 v3, s1, v4
	v_fmac_f32_e32 v2, s0, v4
	v_fma_f32 v4, s0, v5, -v3
	v_cvt_f64_f32_e32 v[2:3], v2
	v_cvt_f64_f32_e32 v[4:5], v4
	v_mad_u64_u32 v[6:7], s[0:1], s8, v6, v[0:1]
	v_mul_f64 v[2:3], v[2:3], s[4:5]
	v_mul_f64 v[4:5], v[4:5], s[4:5]
	s_mul_i32 s0, s9, 0x538
	v_add_u32_e32 v7, s0, v7
	v_cvt_f32_f64_e32 v2, v[2:3]
	v_cvt_f32_f64_e32 v3, v[4:5]
	ds_read_b64 v[4:5], v115 offset:1448
	global_store_dwordx2 v[6:7], v[2:3], off
	s_load_dwordx2 s[0:1], s[2:3], 0x5a8
	v_mov_b32_e32 v6, 0x5a8
	s_waitcnt lgkmcnt(0)
	v_mul_f32_e32 v2, s1, v5
	v_mul_f32_e32 v3, s1, v4
	v_fmac_f32_e32 v2, s0, v4
	v_fma_f32 v4, s0, v5, -v3
	v_cvt_f64_f32_e32 v[2:3], v2
	v_cvt_f64_f32_e32 v[4:5], v4
	v_mad_u64_u32 v[0:1], s[0:1], s8, v6, v[0:1]
	v_mul_f64 v[2:3], v[2:3], s[4:5]
	v_mul_f64 v[4:5], v[4:5], s[4:5]
	s_mul_i32 s0, s9, 0x5a8
	v_add_u32_e32 v1, s0, v1
	v_cvt_f32_f64_e32 v2, v[2:3]
	v_cvt_f32_f64_e32 v3, v[4:5]
	global_store_dwordx2 v[0:1], v[2:3], off
.LBB0_15:
	s_endpgm
	.section	.rodata,"a",@progbits
	.p2align	6, 0x0
	.amdhsa_kernel bluestein_single_fwd_len182_dim1_sp_op_CI_CI
		.amdhsa_group_segment_fixed_size 5824
		.amdhsa_private_segment_fixed_size 0
		.amdhsa_kernarg_size 104
		.amdhsa_user_sgpr_count 6
		.amdhsa_user_sgpr_private_segment_buffer 1
		.amdhsa_user_sgpr_dispatch_ptr 0
		.amdhsa_user_sgpr_queue_ptr 0
		.amdhsa_user_sgpr_kernarg_segment_ptr 1
		.amdhsa_user_sgpr_dispatch_id 0
		.amdhsa_user_sgpr_flat_scratch_init 0
		.amdhsa_user_sgpr_private_segment_size 0
		.amdhsa_uses_dynamic_stack 0
		.amdhsa_system_sgpr_private_segment_wavefront_offset 0
		.amdhsa_system_sgpr_workgroup_id_x 1
		.amdhsa_system_sgpr_workgroup_id_y 0
		.amdhsa_system_sgpr_workgroup_id_z 0
		.amdhsa_system_sgpr_workgroup_info 0
		.amdhsa_system_vgpr_workitem_id 0
		.amdhsa_next_free_vgpr 196
		.amdhsa_next_free_sgpr 20
		.amdhsa_reserve_vcc 1
		.amdhsa_reserve_flat_scratch 0
		.amdhsa_float_round_mode_32 0
		.amdhsa_float_round_mode_16_64 0
		.amdhsa_float_denorm_mode_32 3
		.amdhsa_float_denorm_mode_16_64 3
		.amdhsa_dx10_clamp 1
		.amdhsa_ieee_mode 1
		.amdhsa_fp16_overflow 0
		.amdhsa_exception_fp_ieee_invalid_op 0
		.amdhsa_exception_fp_denorm_src 0
		.amdhsa_exception_fp_ieee_div_zero 0
		.amdhsa_exception_fp_ieee_overflow 0
		.amdhsa_exception_fp_ieee_underflow 0
		.amdhsa_exception_fp_ieee_inexact 0
		.amdhsa_exception_int_div_zero 0
	.end_amdhsa_kernel
	.text
.Lfunc_end0:
	.size	bluestein_single_fwd_len182_dim1_sp_op_CI_CI, .Lfunc_end0-bluestein_single_fwd_len182_dim1_sp_op_CI_CI
                                        ; -- End function
	.section	.AMDGPU.csdata,"",@progbits
; Kernel info:
; codeLenInByte = 20996
; NumSgprs: 24
; NumVgprs: 196
; ScratchSize: 0
; MemoryBound: 0
; FloatMode: 240
; IeeeMode: 1
; LDSByteSize: 5824 bytes/workgroup (compile time only)
; SGPRBlocks: 2
; VGPRBlocks: 48
; NumSGPRsForWavesPerEU: 24
; NumVGPRsForWavesPerEU: 196
; Occupancy: 1
; WaveLimiterHint : 1
; COMPUTE_PGM_RSRC2:SCRATCH_EN: 0
; COMPUTE_PGM_RSRC2:USER_SGPR: 6
; COMPUTE_PGM_RSRC2:TRAP_HANDLER: 0
; COMPUTE_PGM_RSRC2:TGID_X_EN: 1
; COMPUTE_PGM_RSRC2:TGID_Y_EN: 0
; COMPUTE_PGM_RSRC2:TGID_Z_EN: 0
; COMPUTE_PGM_RSRC2:TIDIG_COMP_CNT: 0
	.type	__hip_cuid_9ab3238b055671c7,@object ; @__hip_cuid_9ab3238b055671c7
	.section	.bss,"aw",@nobits
	.globl	__hip_cuid_9ab3238b055671c7
__hip_cuid_9ab3238b055671c7:
	.byte	0                               ; 0x0
	.size	__hip_cuid_9ab3238b055671c7, 1

	.ident	"AMD clang version 19.0.0git (https://github.com/RadeonOpenCompute/llvm-project roc-6.4.0 25133 c7fe45cf4b819c5991fe208aaa96edf142730f1d)"
	.section	".note.GNU-stack","",@progbits
	.addrsig
	.addrsig_sym __hip_cuid_9ab3238b055671c7
	.amdgpu_metadata
---
amdhsa.kernels:
  - .args:
      - .actual_access:  read_only
        .address_space:  global
        .offset:         0
        .size:           8
        .value_kind:     global_buffer
      - .actual_access:  read_only
        .address_space:  global
        .offset:         8
        .size:           8
        .value_kind:     global_buffer
      - .actual_access:  read_only
        .address_space:  global
        .offset:         16
        .size:           8
        .value_kind:     global_buffer
      - .actual_access:  read_only
        .address_space:  global
        .offset:         24
        .size:           8
        .value_kind:     global_buffer
      - .actual_access:  read_only
        .address_space:  global
        .offset:         32
        .size:           8
        .value_kind:     global_buffer
      - .offset:         40
        .size:           8
        .value_kind:     by_value
      - .address_space:  global
        .offset:         48
        .size:           8
        .value_kind:     global_buffer
      - .address_space:  global
        .offset:         56
        .size:           8
        .value_kind:     global_buffer
      - .address_space:  global
        .offset:         64
        .size:           8
        .value_kind:     global_buffer
      - .address_space:  global
        .offset:         72
        .size:           8
        .value_kind:     global_buffer
      - .offset:         80
        .size:           4
        .value_kind:     by_value
      - .address_space:  global
        .offset:         88
        .size:           8
        .value_kind:     global_buffer
      - .address_space:  global
        .offset:         96
        .size:           8
        .value_kind:     global_buffer
    .group_segment_fixed_size: 5824
    .kernarg_segment_align: 8
    .kernarg_segment_size: 104
    .language:       OpenCL C
    .language_version:
      - 2
      - 0
    .max_flat_workgroup_size: 52
    .name:           bluestein_single_fwd_len182_dim1_sp_op_CI_CI
    .private_segment_fixed_size: 0
    .sgpr_count:     24
    .sgpr_spill_count: 0
    .symbol:         bluestein_single_fwd_len182_dim1_sp_op_CI_CI.kd
    .uniform_work_group_size: 1
    .uses_dynamic_stack: false
    .vgpr_count:     196
    .vgpr_spill_count: 0
    .wavefront_size: 64
amdhsa.target:   amdgcn-amd-amdhsa--gfx906
amdhsa.version:
  - 1
  - 2
...

	.end_amdgpu_metadata
